;; amdgpu-corpus repo=ROCm/rocFFT kind=compiled arch=gfx906 opt=O3
	.text
	.amdgcn_target "amdgcn-amd-amdhsa--gfx906"
	.amdhsa_code_object_version 6
	.protected	bluestein_single_fwd_len156_dim1_dp_op_CI_CI ; -- Begin function bluestein_single_fwd_len156_dim1_dp_op_CI_CI
	.globl	bluestein_single_fwd_len156_dim1_dp_op_CI_CI
	.p2align	8
	.type	bluestein_single_fwd_len156_dim1_dp_op_CI_CI,@function
bluestein_single_fwd_len156_dim1_dp_op_CI_CI: ; @bluestein_single_fwd_len156_dim1_dp_op_CI_CI
; %bb.0:
	v_mul_u32_u24_e32 v1, 0x13b2, v0
	s_mov_b64 s[50:51], s[2:3]
	s_load_dwordx4 s[16:19], s[4:5], 0x28
	v_lshrrev_b32_e32 v1, 16, v1
	s_mov_b64 s[48:49], s[0:1]
	v_mad_u64_u32 v[164:165], s[0:1], s6, 9, v[1:2]
	v_mov_b32_e32 v165, 0
	s_add_u32 s48, s48, s7
	s_waitcnt lgkmcnt(0)
	v_cmp_gt_u64_e32 vcc, s[16:17], v[164:165]
	s_addc_u32 s49, s49, 0
                                        ; kill: def $vgpr2 killed $sgpr0 killed $exec
	s_and_saveexec_b64 s[0:1], vcc
	s_cbranch_execz .LBB0_10
; %bb.1:
	s_load_dwordx4 s[0:3], s[4:5], 0x18
	s_load_dwordx4 s[12:15], s[4:5], 0x0
	v_mul_lo_u16_e32 v1, 13, v1
	v_sub_u16_e32 v247, v0, v1
	v_lshlrev_b32_e32 v48, 4, v247
	s_waitcnt lgkmcnt(0)
	s_load_dwordx4 s[8:11], s[0:1], 0x0
	v_add_u32_e32 v117, 39, v247
	s_waitcnt lgkmcnt(0)
	v_mad_u64_u32 v[0:1], s[0:1], s10, v164, 0
	v_mad_u64_u32 v[2:3], s[0:1], s8, v247, 0
	s_mul_hi_u32 s7, s8, 0xfffffa50
	s_mul_i32 s6, s9, 0xfffffa50
	v_mad_u64_u32 v[4:5], s[0:1], s11, v164, v[1:2]
	s_sub_i32 s7, s7, s8
	s_add_i32 s6, s7, s6
	v_mad_u64_u32 v[5:6], s[0:1], s9, v247, v[3:4]
	v_mov_b32_e32 v1, v4
	v_lshlrev_b64 v[0:1], 4, v[0:1]
	v_mov_b32_e32 v3, v5
	v_mov_b32_e32 v6, s19
	v_lshlrev_b64 v[2:3], 4, v[2:3]
	v_add_co_u32_e32 v0, vcc, s18, v0
	v_addc_co_u32_e32 v1, vcc, v6, v1, vcc
	v_add_co_u32_e32 v0, vcc, v0, v2
	s_mul_i32 s0, s9, 0x340
	s_mul_hi_u32 s1, s8, 0x340
	v_addc_co_u32_e32 v1, vcc, v1, v3, vcc
	s_add_i32 s0, s1, s0
	s_mul_i32 s1, s8, 0x340
	global_load_dwordx4 v[49:52], v[0:1], off
	v_mov_b32_e32 v2, s0
	v_add_co_u32_e32 v0, vcc, s1, v0
	v_addc_co_u32_e32 v1, vcc, v1, v2, vcc
	v_mov_b32_e32 v3, s0
	v_add_co_u32_e32 v2, vcc, s1, v0
	v_addc_co_u32_e32 v3, vcc, v1, v3, vcc
	global_load_dwordx4 v[53:56], v[0:1], off
	global_load_dwordx4 v[57:60], v[2:3], off
	global_load_dwordx4 v[44:47], v48, s[12:13]
	global_load_dwordx4 v[20:23], v48, s[12:13] offset:208
	s_mul_i32 s7, s8, 0xfffffa50
	v_mov_b32_e32 v1, s6
	v_add_co_u32_e32 v0, vcc, s7, v2
	v_addc_co_u32_e32 v1, vcc, v3, v1, vcc
	v_mov_b32_e32 v3, s0
	v_add_co_u32_e32 v2, vcc, s1, v0
	v_addc_co_u32_e32 v3, vcc, v1, v3, vcc
	global_load_dwordx4 v[61:64], v[0:1], off
	global_load_dwordx4 v[65:68], v[2:3], off
	global_load_dwordx4 v[40:43], v48, s[12:13] offset:832
	global_load_dwordx4 v[28:31], v48, s[12:13] offset:1040
	v_mov_b32_e32 v1, s0
	v_add_co_u32_e32 v0, vcc, s1, v2
	v_addc_co_u32_e32 v1, vcc, v3, v1, vcc
	global_load_dwordx4 v[69:72], v[0:1], off
	global_load_dwordx4 v[36:39], v48, s[12:13] offset:1664
	global_load_dwordx4 v[32:35], v48, s[12:13] offset:1872
	v_mov_b32_e32 v2, s6
	v_add_co_u32_e32 v0, vcc, s7, v0
	v_addc_co_u32_e32 v1, vcc, v1, v2, vcc
	global_load_dwordx4 v[73:76], v[0:1], off
	global_load_dwordx4 v[8:11], v48, s[12:13] offset:416
	v_mov_b32_e32 v2, s0
	v_add_co_u32_e32 v0, vcc, s1, v0
	v_addc_co_u32_e32 v1, vcc, v1, v2, vcc
	v_add_co_u32_e32 v12, vcc, s1, v0
	v_addc_co_u32_e32 v13, vcc, v1, v2, vcc
	v_mov_b32_e32 v14, s6
	v_add_co_u32_e32 v16, vcc, s7, v12
	v_addc_co_u32_e32 v17, vcc, v13, v14, vcc
	v_mov_b32_e32 v18, s0
	;; [unrolled: 3-line block ×3, first 2 shown]
	v_add_co_u32_e32 v97, vcc, s1, v24
	v_addc_co_u32_e32 v98, vcc, v25, v26, vcc
	s_mov_b32 s0, 0x38e38e39
	global_load_dwordx4 v[77:80], v[0:1], off
	global_load_dwordx4 v[4:7], v48, s[12:13] offset:1248
	global_load_dwordx4 v[81:84], v[12:13], off
	s_nop 0
	global_load_dwordx4 v[0:3], v48, s[12:13] offset:2080
	global_load_dwordx4 v[85:88], v[16:17], off
	global_load_dwordx4 v[12:15], v48, s[12:13] offset:624
	global_load_dwordx4 v[89:92], v[24:25], off
	s_nop 0
	global_load_dwordx4 v[16:19], v48, s[12:13] offset:1456
	global_load_dwordx4 v[93:96], v[97:98], off
	global_load_dwordx4 v[24:27], v48, s[12:13] offset:2288
	v_mul_hi_u32 v97, v164, s0
	s_load_dwordx4 s[8:11], s[2:3], 0x0
	s_mov_b32 s0, 0xe8584caa
	s_mov_b32 s1, 0x3febb67a
	v_lshrrev_b32_e32 v99, 1, v97
	v_lshl_add_u32 v99, v99, 3, v99
	v_sub_u32_e32 v111, v164, v99
	s_mov_b32 s3, 0xbfebb67a
	s_mov_b32 s2, s0
	s_waitcnt vmcnt(20)
	v_mul_f64 v[97:98], v[51:52], v[46:47]
	v_mul_f64 v[99:100], v[49:50], v[46:47]
	v_fma_f64 v[49:50], v[49:50], v[44:45], v[97:98]
	v_fma_f64 v[51:52], v[51:52], v[44:45], -v[99:100]
	s_waitcnt vmcnt(18)
	v_mul_f64 v[97:98], v[63:64], v[22:23]
	v_mul_f64 v[109:110], v[61:62], v[22:23]
	s_waitcnt vmcnt(16)
	v_mul_f64 v[101:102], v[55:56], v[42:43]
	v_mul_f64 v[103:104], v[53:54], v[42:43]
	v_mul_u32_u24_e32 v99, 0x9c, v111
	v_lshlrev_b32_e32 v246, 4, v99
	v_add_u32_e32 v245, v48, v246
	v_fma_f64 v[61:62], v[61:62], v[20:21], v[97:98]
	buffer_store_dword v20, off, s[48:51], 0 offset:80 ; 4-byte Folded Spill
	s_nop 0
	buffer_store_dword v21, off, s[48:51], 0 offset:84 ; 4-byte Folded Spill
	buffer_store_dword v22, off, s[48:51], 0 offset:88 ; 4-byte Folded Spill
	;; [unrolled: 1-line block ×3, first 2 shown]
	s_waitcnt vmcnt(17)
	v_mul_f64 v[105:106], v[59:60], v[38:39]
	v_mul_f64 v[107:108], v[57:58], v[38:39]
	v_fma_f64 v[53:54], v[53:54], v[40:41], v[101:102]
	v_fma_f64 v[55:56], v[55:56], v[40:41], -v[103:104]
	v_fma_f64 v[57:58], v[57:58], v[36:37], v[105:106]
	v_fma_f64 v[59:60], v[59:60], v[36:37], -v[107:108]
	ds_write_b128 v245, v[49:52]
	ds_write_b128 v245, v[53:56] offset:832
	ds_write_b128 v245, v[57:60] offset:1664
	s_waitcnt vmcnt(14)
	v_mul_f64 v[58:59], v[75:76], v[10:11]
	v_mul_f64 v[50:51], v[67:68], v[30:31]
	;; [unrolled: 1-line block ×5, first 2 shown]
	v_add_co_u32_e32 v49, vcc, 13, v247
	v_fma_f64 v[58:59], v[73:74], v[8:9], v[58:59]
	v_fma_f64 v[50:51], v[65:66], v[28:29], v[50:51]
	v_fma_f64 v[52:53], v[67:68], v[28:29], -v[52:53]
	v_fma_f64 v[54:55], v[69:70], v[32:33], v[54:55]
	v_fma_f64 v[56:57], v[71:72], v[32:33], -v[56:57]
	s_waitcnt vmcnt(12)
	v_mul_f64 v[97:98], v[77:78], v[6:7]
	s_waitcnt vmcnt(10)
	v_mul_f64 v[66:67], v[83:84], v[2:3]
	;; [unrolled: 2-line block ×3, first 2 shown]
	v_mul_f64 v[68:69], v[81:82], v[2:3]
	v_fma_f64 v[66:67], v[81:82], v[0:1], v[66:67]
	v_fma_f64 v[70:71], v[85:86], v[12:13], v[70:71]
	v_fma_f64 v[63:64], v[63:64], v[20:21], -v[109:110]
	ds_write_b128 v245, v[61:64] offset:208
	v_mul_f64 v[62:63], v[79:80], v[6:7]
	v_mul_f64 v[60:61], v[73:74], v[10:11]
	buffer_store_dword v8, off, s[48:51], 0 offset:32 ; 4-byte Folded Spill
	s_nop 0
	buffer_store_dword v9, off, s[48:51], 0 offset:36 ; 4-byte Folded Spill
	buffer_store_dword v10, off, s[48:51], 0 offset:40 ; 4-byte Folded Spill
	;; [unrolled: 1-line block ×3, first 2 shown]
	v_mul_f64 v[72:73], v[85:86], v[14:15]
	v_fma_f64 v[62:63], v[77:78], v[4:5], v[62:63]
	buffer_store_dword v4, off, s[48:51], 0 offset:16 ; 4-byte Folded Spill
	s_nop 0
	buffer_store_dword v5, off, s[48:51], 0 offset:20 ; 4-byte Folded Spill
	buffer_store_dword v6, off, s[48:51], 0 offset:24 ; 4-byte Folded Spill
	;; [unrolled: 1-line block ×3, first 2 shown]
	buffer_store_dword v0, off, s[48:51], 0 ; 4-byte Folded Spill
	s_nop 0
	buffer_store_dword v1, off, s[48:51], 0 offset:4 ; 4-byte Folded Spill
	buffer_store_dword v2, off, s[48:51], 0 offset:8 ; 4-byte Folded Spill
	;; [unrolled: 1-line block ×4, first 2 shown]
	s_nop 0
	buffer_store_dword v13, off, s[48:51], 0 offset:52 ; 4-byte Folded Spill
	buffer_store_dword v14, off, s[48:51], 0 offset:56 ; 4-byte Folded Spill
	;; [unrolled: 1-line block ×3, first 2 shown]
	v_fma_f64 v[60:61], v[75:76], v[8:9], -v[60:61]
	s_waitcnt vmcnt(22)
	v_mul_f64 v[74:75], v[91:92], v[18:19]
	v_mul_f64 v[76:77], v[89:90], v[18:19]
	v_fma_f64 v[64:65], v[79:80], v[4:5], -v[97:98]
	s_waitcnt vmcnt(20)
	v_mul_f64 v[78:79], v[95:96], v[26:27]
	v_fma_f64 v[74:75], v[89:90], v[16:17], v[74:75]
	buffer_store_dword v16, off, s[48:51], 0 offset:64 ; 4-byte Folded Spill
	s_nop 0
	buffer_store_dword v17, off, s[48:51], 0 offset:68 ; 4-byte Folded Spill
	buffer_store_dword v18, off, s[48:51], 0 offset:72 ; 4-byte Folded Spill
	;; [unrolled: 1-line block ×3, first 2 shown]
	v_mul_f64 v[97:98], v[93:94], v[26:27]
	v_fma_f64 v[68:69], v[83:84], v[0:1], -v[68:69]
	v_fma_f64 v[72:73], v[87:88], v[12:13], -v[72:73]
	v_fma_f64 v[78:79], v[93:94], v[24:25], v[78:79]
	buffer_store_dword v24, off, s[48:51], 0 offset:96 ; 4-byte Folded Spill
	s_nop 0
	buffer_store_dword v25, off, s[48:51], 0 offset:100 ; 4-byte Folded Spill
	buffer_store_dword v26, off, s[48:51], 0 offset:104 ; 4-byte Folded Spill
	;; [unrolled: 1-line block ×3, first 2 shown]
	v_fma_f64 v[76:77], v[91:92], v[16:17], -v[76:77]
	v_fma_f64 v[80:81], v[95:96], v[24:25], -v[97:98]
	ds_write_b128 v245, v[50:53] offset:1040
	ds_write_b128 v245, v[54:57] offset:1872
	;; [unrolled: 1-line block ×8, first 2 shown]
	s_waitcnt vmcnt(0) lgkmcnt(0)
	s_barrier
	ds_read_b128 v[51:54], v245 offset:1664
	ds_read_b128 v[55:58], v245 offset:832
	;; [unrolled: 1-line block ×4, first 2 shown]
	ds_read_b128 v[67:70], v245
	ds_read_b128 v[71:74], v245 offset:208
	ds_read_b128 v[75:78], v245 offset:416
	;; [unrolled: 1-line block ×5, first 2 shown]
	s_waitcnt lgkmcnt(8)
	v_add_f64 v[91:92], v[55:56], v[51:52]
	v_add_f64 v[103:104], v[57:58], -v[53:54]
	v_add_f64 v[105:106], v[57:58], v[53:54]
	s_waitcnt lgkmcnt(5)
	v_add_f64 v[57:58], v[69:70], v[57:58]
	v_add_f64 v[99:100], v[67:68], v[55:56]
	;; [unrolled: 1-line block ×3, first 2 shown]
	v_add_f64 v[55:56], v[55:56], -v[51:52]
	v_add_co_u32_e32 v50, vcc, 26, v247
	v_fma_f64 v[101:102], v[91:92], -0.5, v[67:68]
	v_fma_f64 v[105:106], v[105:106], -0.5, v[69:70]
	v_add_f64 v[69:70], v[57:58], v[53:54]
	v_add_f64 v[57:58], v[61:62], v[65:66]
	ds_read_b128 v[91:94], v245 offset:2080
	ds_read_b128 v[95:98], v245 offset:2288
	v_add_f64 v[67:68], v[99:100], v[51:52]
	s_waitcnt lgkmcnt(0)
	s_barrier
	v_fma_f64 v[99:100], v[103:104], s[0:1], v[101:102]
	v_fma_f64 v[51:52], v[103:104], s[2:3], v[101:102]
	v_add_f64 v[103:104], v[71:72], v[59:60]
	v_fma_f64 v[71:72], v[107:108], -0.5, v[71:72]
	v_add_f64 v[107:108], v[61:62], -v[65:66]
	v_fma_f64 v[101:102], v[55:56], s[2:3], v[105:106]
	v_add_f64 v[109:110], v[83:84], v[91:92]
	v_fma_f64 v[53:54], v[55:56], s[0:1], v[105:106]
	v_add_f64 v[61:62], v[73:74], v[61:62]
	v_fma_f64 v[73:74], v[57:58], -0.5, v[73:74]
	v_add_f64 v[105:106], v[59:60], -v[63:64]
	v_add_f64 v[55:56], v[103:104], v[63:64]
	v_add_f64 v[103:104], v[75:76], v[83:84]
	v_fma_f64 v[59:60], v[107:108], s[0:1], v[71:72]
	v_fma_f64 v[109:110], v[109:110], -0.5, v[75:76]
	v_add_f64 v[111:112], v[85:86], -v[93:94]
	v_fma_f64 v[63:64], v[107:108], s[2:3], v[71:72]
	v_add_f64 v[57:58], v[61:62], v[65:66]
	v_fma_f64 v[61:62], v[105:106], s[2:3], v[73:74]
	v_add_f64 v[107:108], v[85:86], v[93:94]
	;; [unrolled: 2-line block ×3, first 2 shown]
	v_add_f64 v[105:106], v[89:90], v[97:98]
	v_add_f64 v[71:72], v[103:104], v[91:92]
	v_add_f64 v[83:84], v[83:84], -v[91:92]
	v_add_f64 v[91:92], v[79:80], v[87:88]
	v_fma_f64 v[75:76], v[111:112], s[0:1], v[109:110]
	v_fma_f64 v[103:104], v[111:112], s[2:3], v[109:110]
	v_fma_f64 v[107:108], v[107:108], -0.5, v[77:78]
	v_fma_f64 v[109:110], v[73:74], -0.5, v[79:80]
	v_add_f64 v[111:112], v[89:90], -v[97:98]
	v_add_f64 v[89:90], v[81:82], v[89:90]
	v_fma_f64 v[113:114], v[105:106], -0.5, v[81:82]
	v_add_f64 v[115:116], v[87:88], -v[95:96]
	v_add_f64 v[85:86], v[77:78], v[85:86]
	v_add_f64 v[79:80], v[91:92], v[95:96]
	v_mul_lo_u16_e32 v91, 3, v247
	v_lshl_add_u32 v193, v91, 4, v246
	ds_write_b128 v193, v[67:70]
	ds_write_b128 v193, v[99:102] offset:16
	ds_write_b128 v193, v[51:54] offset:32
	v_mul_u32_u24_e32 v51, 3, v49
	v_lshl_add_u32 v194, v51, 4, v246
	v_mul_u32_u24_e32 v51, 3, v50
	v_fma_f64 v[77:78], v[83:84], s[2:3], v[107:108]
	v_fma_f64 v[105:106], v[83:84], s[0:1], v[107:108]
	;; [unrolled: 1-line block ×3, first 2 shown]
	v_add_f64 v[81:82], v[89:90], v[97:98]
	v_fma_f64 v[89:90], v[115:116], s[0:1], v[113:114]
	v_lshl_add_u32 v255, v51, 4, v246
	v_mul_u32_u24_e32 v51, 3, v117
	s_movk_i32 s0, 0xab
	v_add_f64 v[73:74], v[85:86], v[93:94]
	v_lshl_add_u32 v248, v51, 4, v246
	v_mul_lo_u16_sdwa v51, v247, s0 dst_sel:DWORD dst_unused:UNUSED_PAD src0_sel:BYTE_0 src1_sel:DWORD
	v_fma_f64 v[85:86], v[115:116], s[2:3], v[113:114]
	v_lshrrev_b16_e32 v156, 9, v51
	v_fma_f64 v[87:88], v[111:112], s[2:3], v[109:110]
	v_mul_lo_u16_e32 v51, 3, v156
	v_sub_u16_e32 v157, v247, v51
	v_mul_lo_u16_e32 v51, 48, v157
	v_and_b32_e32 v51, 0xf0, v51
	v_mov_b32_e32 v53, s15
	v_add_co_u32_e32 v51, vcc, s14, v51
	v_addc_co_u32_e32 v52, vcc, 0, v53, vcc
	ds_write_b128 v194, v[55:58]
	ds_write_b128 v194, v[59:62] offset:16
	ds_write_b128 v194, v[63:66] offset:32
	ds_write_b128 v255, v[71:74]
	ds_write_b128 v255, v[75:78] offset:16
	ds_write_b128 v255, v[103:106] offset:32
	;; [unrolled: 3-line block ×3, first 2 shown]
	s_waitcnt lgkmcnt(0)
	s_barrier
	global_load_dwordx4 v[64:67], v[51:52], off offset:32
	global_load_dwordx4 v[72:75], v[51:52], off offset:16
	global_load_dwordx4 v[84:87], v[51:52], off
	v_mul_lo_u16_sdwa v51, v49, s0 dst_sel:DWORD dst_unused:UNUSED_PAD src0_sel:BYTE_0 src1_sel:DWORD
	v_lshrrev_b16_e32 v158, 9, v51
	v_mul_lo_u16_e32 v51, 3, v158
	v_sub_u16_e32 v159, v49, v51
	v_mul_lo_u16_e32 v49, 48, v159
	v_and_b32_e32 v49, 0xf0, v49
	v_add_co_u32_e32 v51, vcc, s14, v49
	v_addc_co_u32_e32 v52, vcc, 0, v53, vcc
	global_load_dwordx4 v[100:103], v[51:52], off
	global_load_dwordx4 v[96:99], v[51:52], off offset:16
	global_load_dwordx4 v[88:91], v[51:52], off offset:32
	v_mul_lo_u16_sdwa v49, v50, s0 dst_sel:DWORD dst_unused:UNUSED_PAD src0_sel:BYTE_0 src1_sel:DWORD
	v_lshrrev_b16_e32 v162, 9, v49
	v_mul_lo_u16_e32 v49, 3, v162
	v_sub_u16_e32 v49, v50, v49
	v_and_b32_e32 v163, 0xff, v49
	v_mad_u64_u32 v[49:50], s[0:1], v163, 48, s[14:15]
	global_load_dwordx4 v[120:123], v[49:50], off
	global_load_dwordx4 v[116:119], v[49:50], off offset:16
	global_load_dwordx4 v[112:115], v[49:50], off offset:32
	v_mov_b32_e32 v49, s13
	v_add_co_u32_e32 v160, vcc, s12, v48
	v_addc_co_u32_e32 v161, vcc, 0, v49, vcc
	ds_read_b128 v[48:51], v245
	ds_read_b128 v[52:55], v245 offset:208
	ds_read_b128 v[56:59], v245 offset:1248
	;; [unrolled: 1-line block ×11, first 2 shown]
	s_load_dwordx2 s[2:3], s[4:5], 0x38
	v_cmp_gt_u16_e32 vcc, 12, v247
	s_waitcnt vmcnt(0) lgkmcnt(0)
	s_barrier
	v_mul_f64 v[140:141], v[106:107], v[66:67]
	v_mul_f64 v[136:137], v[58:59], v[74:75]
	;; [unrolled: 1-line block ×6, first 2 shown]
	v_fma_f64 v[104:105], v[104:105], v[64:65], -v[140:141]
	v_fma_f64 v[56:57], v[56:57], v[72:73], -v[136:137]
	;; [unrolled: 1-line block ×3, first 2 shown]
	v_mul_f64 v[144:145], v[78:79], v[102:103]
	v_mul_f64 v[146:147], v[76:77], v[102:103]
	v_fma_f64 v[70:71], v[70:71], v[84:85], v[134:135]
	v_fma_f64 v[58:59], v[58:59], v[72:73], v[138:139]
	;; [unrolled: 1-line block ×3, first 2 shown]
	v_mul_f64 v[136:137], v[126:127], v[90:91]
	v_mul_f64 v[138:139], v[124:125], v[90:91]
	v_add_f64 v[56:57], v[48:49], -v[56:57]
	v_fma_f64 v[132:133], v[76:77], v[100:101], -v[144:145]
	v_fma_f64 v[134:135], v[78:79], v[100:101], v[146:147]
	v_mul_f64 v[76:77], v[62:63], v[98:99]
	v_mul_f64 v[78:79], v[60:61], v[98:99]
	v_add_f64 v[58:59], v[50:51], -v[58:59]
	v_add_f64 v[104:105], v[68:69], -v[104:105]
	v_add_f64 v[106:107], v[70:71], -v[106:107]
	v_fma_f64 v[124:125], v[124:125], v[88:89], -v[136:137]
	v_fma_f64 v[126:127], v[126:127], v[88:89], v[138:139]
	v_fma_f64 v[48:49], v[48:49], 2.0, -v[56:57]
	v_fma_f64 v[60:61], v[60:61], v[96:97], -v[76:77]
	v_fma_f64 v[62:63], v[62:63], v[96:97], v[78:79]
	v_fma_f64 v[50:51], v[50:51], 2.0, -v[58:59]
	v_fma_f64 v[68:69], v[68:69], 2.0, -v[104:105]
	;; [unrolled: 1-line block ×3, first 2 shown]
	v_mul_f64 v[76:77], v[94:95], v[122:123]
	v_mul_f64 v[78:79], v[92:93], v[122:123]
	v_mul_f64 v[136:137], v[110:111], v[118:119]
	v_mul_f64 v[138:139], v[108:109], v[118:119]
	v_mul_f64 v[140:141], v[130:131], v[114:115]
	v_mul_f64 v[142:143], v[128:129], v[114:115]
	v_add_f64 v[68:69], v[48:49], -v[68:69]
	v_add_f64 v[70:71], v[50:51], -v[70:71]
	v_fma_f64 v[92:93], v[92:93], v[120:121], -v[76:77]
	v_fma_f64 v[94:95], v[94:95], v[120:121], v[78:79]
	v_fma_f64 v[108:109], v[108:109], v[116:117], -v[136:137]
	v_fma_f64 v[110:111], v[110:111], v[116:117], v[138:139]
	;; [unrolled: 2-line block ×3, first 2 shown]
	v_fma_f64 v[136:137], v[48:49], 2.0, -v[68:69]
	v_fma_f64 v[138:139], v[50:51], 2.0, -v[70:71]
	v_add_f64 v[76:77], v[56:57], -v[106:107]
	v_add_f64 v[78:79], v[58:59], v[104:105]
	v_add_f64 v[48:49], v[52:53], -v[60:61]
	v_add_f64 v[50:51], v[54:55], -v[62:63]
	v_add_f64 v[60:61], v[132:133], -v[124:125]
	v_add_f64 v[62:63], v[134:135], -v[126:127]
	v_add_f64 v[108:109], v[80:81], -v[108:109]
	v_add_f64 v[110:111], v[82:83], -v[110:111]
	v_add_f64 v[104:105], v[92:93], -v[128:129]
	v_add_f64 v[106:107], v[94:95], -v[130:131]
	v_fma_f64 v[52:53], v[52:53], 2.0, -v[48:49]
	v_fma_f64 v[54:55], v[54:55], 2.0, -v[50:51]
	;; [unrolled: 1-line block ×8, first 2 shown]
	v_add_f64 v[128:129], v[48:49], -v[62:63]
	v_add_f64 v[130:131], v[50:51], v[60:61]
	v_add_f64 v[80:81], v[52:53], -v[124:125]
	v_add_f64 v[82:83], v[54:55], -v[126:127]
	;; [unrolled: 1-line block ×3, first 2 shown]
	v_add_f64 v[146:147], v[110:111], v[104:105]
	v_add_f64 v[132:133], v[140:141], -v[132:133]
	v_add_f64 v[134:135], v[142:143], -v[134:135]
	v_fma_f64 v[148:149], v[48:49], 2.0, -v[128:129]
	v_mul_lo_u16_e32 v48, 12, v156
	v_fma_f64 v[92:93], v[56:57], 2.0, -v[76:77]
	v_fma_f64 v[94:95], v[58:59], 2.0, -v[78:79]
	;; [unrolled: 1-line block ×9, first 2 shown]
	v_or_b32_e32 v48, v48, v157
	v_and_b32_e32 v48, 0xff, v48
	v_lshl_add_u32 v197, v48, 4, v246
	v_mul_lo_u16_e32 v48, 12, v158
	v_or_b32_e32 v48, v48, v159
	v_and_b32_e32 v48, 0xff, v48
	v_lshl_add_u32 v1, v48, 4, v246
	v_mul_u32_u24_e32 v48, 12, v162
	v_or_b32_e32 v48, v48, v163
	v_lshl_add_u32 v0, v48, 4, v246
	ds_write_b128 v197, v[136:139]
	ds_write_b128 v197, v[92:95] offset:48
	ds_write_b128 v197, v[68:71] offset:96
	ds_write_b128 v197, v[76:79] offset:144
	ds_write_b128 v1, v[104:107]
	ds_write_b128 v1, v[148:151] offset:48
	ds_write_b128 v1, v[80:83] offset:96
	ds_write_b128 v1, v[128:131] offset:144
	;; [unrolled: 4-line block ×3, first 2 shown]
	s_waitcnt lgkmcnt(0)
	s_barrier
	s_waitcnt lgkmcnt(0)
                                        ; implicit-def: $vgpr156_vgpr157
	s_and_saveexec_b64 s[0:1], vcc
	s_cbranch_execz .LBB0_3
; %bb.2:
	ds_read_b128 v[136:139], v245
	ds_read_b128 v[92:95], v245 offset:192
	ds_read_b128 v[68:71], v245 offset:384
	;; [unrolled: 1-line block ×12, first 2 shown]
.LBB0_3:
	s_or_b64 exec, exec, s[0:1]
	v_add_u32_e32 v48, -12, v247
	v_cndmask_b32_e32 v48, v48, v247, vcc
	v_mul_hi_i32_i24_e32 v49, 0xc0, v48
	v_mul_i32_i24_e32 v48, 0xc0, v48
	v_add_co_u32_e64 v165, s[0:1], s14, v48
	v_mov_b32_e32 v48, s15
	v_addc_co_u32_e64 v166, s[0:1], v48, v49, s[0:1]
	global_load_dwordx4 v[60:63], v[165:166], off offset:192
	global_load_dwordx4 v[52:55], v[165:166], off offset:176
	;; [unrolled: 1-line block ×4, first 2 shown]
	s_mov_b32 s20, 0x4267c47c
	s_mov_b32 s21, 0xbfddbe06
	;; [unrolled: 1-line block ×24, first 2 shown]
	s_waitcnt vmcnt(0) lgkmcnt(11)
	v_mul_f64 v[108:109], v[94:95], v[58:59]
	v_fma_f64 v[177:178], v[92:93], v[56:57], -v[108:109]
	v_mul_f64 v[92:93], v[92:93], v[58:59]
	v_fma_f64 v[179:180], v[94:95], v[56:57], v[92:93]
	s_waitcnt lgkmcnt(10)
	v_mul_f64 v[92:93], v[70:71], v[50:51]
	v_fma_f64 v[173:174], v[68:69], v[48:49], -v[92:93]
	v_mul_f64 v[68:69], v[68:69], v[50:51]
	v_fma_f64 v[175:176], v[70:71], v[48:49], v[68:69]
	s_waitcnt lgkmcnt(9)
	v_mul_f64 v[68:69], v[78:79], v[54:55]
	v_fma_f64 v[169:170], v[76:77], v[52:53], -v[68:69]
	v_mul_f64 v[68:69], v[76:77], v[54:55]
	v_fma_f64 v[171:172], v[78:79], v[52:53], v[68:69]
	s_waitcnt lgkmcnt(8)
	v_mul_f64 v[68:69], v[106:107], v[62:63]
	v_fma_f64 v[162:163], v[104:105], v[60:61], -v[68:69]
	v_mul_f64 v[68:69], v[104:105], v[62:63]
	v_fma_f64 v[167:168], v[106:107], v[60:61], v[68:69]
	global_load_dwordx4 v[92:95], v[165:166], off offset:256
	global_load_dwordx4 v[104:107], v[165:166], off offset:240
	;; [unrolled: 1-line block ×4, first 2 shown]
	s_waitcnt vmcnt(0) lgkmcnt(7)
	v_mul_f64 v[68:69], v[150:151], v[126:127]
	v_fma_f64 v[187:188], v[148:149], v[124:125], -v[68:69]
	v_mul_f64 v[68:69], v[148:149], v[126:127]
	v_fma_f64 v[189:190], v[150:151], v[124:125], v[68:69]
	s_waitcnt lgkmcnt(6)
	v_mul_f64 v[68:69], v[82:83], v[110:111]
	v_fma_f64 v[183:184], v[80:81], v[108:109], -v[68:69]
	v_mul_f64 v[68:69], v[80:81], v[110:111]
	v_fma_f64 v[185:186], v[82:83], v[108:109], v[68:69]
	s_waitcnt lgkmcnt(5)
	v_mul_f64 v[68:69], v[130:131], v[106:107]
	v_fma_f64 v[2:3], v[128:129], v[104:105], -v[68:69]
	v_mul_f64 v[68:69], v[128:129], v[106:107]
	v_add_f64 v[243:244], v[183:184], v[2:3]
	v_fma_f64 v[181:182], v[130:131], v[104:105], v[68:69]
	s_waitcnt lgkmcnt(4)
	v_mul_f64 v[68:69], v[154:155], v[94:95]
	v_add_f64 v[203:204], v[183:184], -v[2:3]
	v_add_f64 v[207:208], v[185:186], -v[181:182]
	v_fma_f64 v[150:151], v[152:153], v[92:93], -v[68:69]
	v_mul_f64 v[68:69], v[152:153], v[94:95]
	v_add_f64 v[225:226], v[185:186], v[181:182]
	v_mul_f64 v[237:238], v[203:204], s[28:29]
	v_mul_f64 v[233:234], v[207:208], s[28:29]
	v_add_f64 v[235:236], v[187:188], v[150:151]
	v_fma_f64 v[152:153], v[154:155], v[92:93], v[68:69]
	global_load_dwordx4 v[80:83], v[165:166], off offset:320
	global_load_dwordx4 v[76:79], v[165:166], off offset:304
	;; [unrolled: 1-line block ×4, first 2 shown]
	v_add_f64 v[249:250], v[187:188], -v[150:151]
	v_add_f64 v[251:252], v[189:190], -v[152:153]
	v_add_f64 v[221:222], v[189:190], v[152:153]
	v_mul_f64 v[20:21], v[249:250], s[30:31]
	v_mul_f64 v[22:23], v[251:252], s[30:31]
	s_waitcnt vmcnt(0) lgkmcnt(3)
	v_mul_f64 v[148:149], v[142:143], v[130:131]
	v_fma_f64 v[191:192], v[140:141], v[128:129], -v[148:149]
	v_mul_f64 v[140:141], v[140:141], v[130:131]
	v_add_f64 v[223:224], v[162:163], v[191:192]
	v_fma_f64 v[198:199], v[142:143], v[128:129], v[140:141]
	s_waitcnt lgkmcnt(2)
	v_mul_f64 v[140:141], v[134:135], v[70:71]
	v_add_f64 v[239:240], v[162:163], -v[191:192]
	v_add_f64 v[241:242], v[167:168], -v[198:199]
	v_fma_f64 v[154:155], v[132:133], v[68:69], -v[140:141]
	v_mul_f64 v[132:133], v[132:133], v[70:71]
	v_add_f64 v[213:214], v[167:168], v[198:199]
	v_mul_f64 v[16:17], v[239:240], s[22:23]
	v_mul_f64 v[18:19], v[241:242], s[22:23]
	v_add_f64 v[211:212], v[169:170], v[154:155]
	v_fma_f64 v[165:166], v[134:135], v[68:69], v[132:133]
	s_waitcnt lgkmcnt(1)
	v_mul_f64 v[132:133], v[146:147], v[78:79]
	v_add_f64 v[227:228], v[169:170], -v[154:155]
	v_add_f64 v[229:230], v[171:172], -v[165:166]
	v_fma_f64 v[148:149], v[144:145], v[76:77], -v[132:133]
	v_mul_f64 v[132:133], v[144:145], v[78:79]
	v_add_f64 v[209:210], v[171:172], v[165:166]
	v_mul_f64 v[12:13], v[227:228], s[26:27]
	;; [unrolled: 11-line block ×3, first 2 shown]
	v_mul_f64 v[10:11], v[217:218], s[14:15]
	v_add_f64 v[156:157], v[177:178], v[142:143]
	v_fma_f64 v[144:145], v[158:159], v[80:81], v[132:133]
	v_add_f64 v[158:159], v[177:178], -v[142:143]
	v_fma_f64 v[140:141], v[205:206], s[4:5], v[10:11]
	v_add_f64 v[219:220], v[179:180], -v[144:145]
	v_add_f64 v[231:232], v[179:180], v[144:145]
	v_mul_f64 v[4:5], v[158:159], s[20:21]
	v_mul_f64 v[6:7], v[219:220], s[20:21]
	v_fma_f64 v[134:135], v[231:232], s[0:1], -v[4:5]
	v_fma_f64 v[132:133], v[156:157], s[0:1], v[6:7]
	v_add_f64 v[134:135], v[138:139], v[134:135]
	v_add_f64 v[132:133], v[136:137], v[132:133]
	;; [unrolled: 1-line block ×3, first 2 shown]
	v_fma_f64 v[140:141], v[253:254], s[4:5], -v[8:9]
	v_add_f64 v[134:135], v[140:141], v[134:135]
	v_fma_f64 v[140:141], v[211:212], s[6:7], v[14:15]
	v_add_f64 v[132:133], v[140:141], v[132:133]
	v_fma_f64 v[140:141], v[209:210], s[6:7], -v[12:13]
	v_add_f64 v[134:135], v[140:141], v[134:135]
	v_fma_f64 v[140:141], v[223:224], s[16:17], v[18:19]
	v_add_f64 v[132:133], v[140:141], v[132:133]
	;; [unrolled: 4-line block ×4, first 2 shown]
	v_fma_f64 v[140:141], v[225:226], s[24:25], -v[237:238]
	v_add_f64 v[134:135], v[140:141], v[134:135]
	s_and_saveexec_b64 s[34:35], vcc
	s_cbranch_execz .LBB0_5
; %bb.4:
	v_mul_f64 v[24:25], v[156:157], s[0:1]
	v_mul_f64 v[140:141], v[231:232], s[24:25]
	v_mov_b32_e32 v26, v142
	s_mov_b32 s39, 0x3fcea1e5
	s_mov_b32 s38, s28
	v_mov_b32_e32 v27, v143
	v_mul_f64 v[142:143], v[253:254], s[0:1]
	s_mov_b32 s37, 0x3fe5384d
	buffer_store_dword v24, off, s[48:51], 0 offset:228 ; 4-byte Folded Spill
	s_nop 0
	buffer_store_dword v25, off, s[48:51], 0 offset:232 ; 4-byte Folded Spill
	v_mul_f64 v[24:25], v[231:232], s[0:1]
	s_mov_b32 s36, s30
	s_mov_b32 s41, 0x3fddbe06
	;; [unrolled: 1-line block ×7, first 2 shown]
	buffer_store_dword v24, off, s[48:51], 0 offset:252 ; 4-byte Folded Spill
	s_nop 0
	buffer_store_dword v25, off, s[48:51], 0 offset:256 ; 4-byte Folded Spill
	v_mul_f64 v[24:25], v[205:206], s[4:5]
	s_mov_b32 s43, 0x3fefc445
	s_mov_b32 s42, s26
	v_mul_f64 v[201:202], v[241:242], s[40:41]
	buffer_store_dword v24, off, s[48:51], 0 offset:212 ; 4-byte Folded Spill
	s_nop 0
	buffer_store_dword v25, off, s[48:51], 0 offset:216 ; 4-byte Folded Spill
	v_mul_f64 v[24:25], v[253:254], s[4:5]
	buffer_store_dword v24, off, s[48:51], 0 offset:236 ; 4-byte Folded Spill
	s_nop 0
	buffer_store_dword v25, off, s[48:51], 0 offset:240 ; 4-byte Folded Spill
	;; [unrolled: 4-line block ×3, first 2 shown]
	v_fma_f64 v[144:145], v[158:159], s[38:39], v[140:141]
	v_fma_f64 v[140:141], v[158:159], s[28:29], v[140:141]
	buffer_store_dword v24, off, s[48:51], 0 offset:204 ; 4-byte Folded Spill
	s_nop 0
	buffer_store_dword v25, off, s[48:51], 0 offset:208 ; 4-byte Folded Spill
	v_mul_f64 v[24:25], v[209:210], s[6:7]
	v_add_f64 v[144:145], v[138:139], v[144:145]
	v_add_f64 v[140:141], v[138:139], v[140:141]
	buffer_store_dword v24, off, s[48:51], 0 offset:220 ; 4-byte Folded Spill
	s_nop 0
	buffer_store_dword v25, off, s[48:51], 0 offset:224 ; 4-byte Folded Spill
	v_mul_f64 v[24:25], v[223:224], s[16:17]
	buffer_store_dword v24, off, s[48:51], 0 offset:172 ; 4-byte Folded Spill
	s_nop 0
	buffer_store_dword v25, off, s[48:51], 0 offset:176 ; 4-byte Folded Spill
	v_mul_f64 v[24:25], v[213:214], s[16:17]
	;; [unrolled: 4-line block ×3, first 2 shown]
	buffer_store_dword v24, off, s[48:51], 0 offset:164 ; 4-byte Folded Spill
	s_nop 0
	buffer_store_dword v25, off, s[48:51], 0 offset:168 ; 4-byte Folded Spill
	buffer_store_dword v146, off, s[48:51], 0 offset:148 ; 4-byte Folded Spill
	s_nop 0
	buffer_store_dword v147, off, s[48:51], 0 offset:152 ; 4-byte Folded Spill
	v_mul_f64 v[24:25], v[221:222], s[18:19]
	buffer_store_dword v148, off, s[48:51], 0 offset:140 ; 4-byte Folded Spill
	s_nop 0
	buffer_store_dword v149, off, s[48:51], 0 offset:144 ; 4-byte Folded Spill
	v_mul_f64 v[146:147], v[209:210], s[18:19]
	v_fma_f64 v[148:149], v[215:216], s[20:21], v[142:143]
	v_fma_f64 v[142:143], v[215:216], s[40:41], v[142:143]
	buffer_store_dword v24, off, s[48:51], 0 offset:180 ; 4-byte Folded Spill
	s_nop 0
	buffer_store_dword v25, off, s[48:51], 0 offset:184 ; 4-byte Folded Spill
	v_mul_f64 v[24:25], v[243:244], s[24:25]
	buffer_store_dword v24, off, s[48:51], 0 offset:156 ; 4-byte Folded Spill
	s_nop 0
	buffer_store_dword v25, off, s[48:51], 0 offset:160 ; 4-byte Folded Spill
	buffer_store_dword v150, off, s[48:51], 0 offset:244 ; 4-byte Folded Spill
	s_nop 0
	buffer_store_dword v151, off, s[48:51], 0 offset:248 ; 4-byte Folded Spill
	buffer_store_dword v165, off, s[48:51], 0 offset:188 ; 4-byte Folded Spill
	s_nop 0
	buffer_store_dword v166, off, s[48:51], 0 offset:192 ; 4-byte Folded Spill
	buffer_store_dword v167, off, s[48:51], 0 offset:260 ; 4-byte Folded Spill
	s_nop 0
	buffer_store_dword v168, off, s[48:51], 0 offset:264 ; 4-byte Folded Spill
	buffer_store_dword v169, off, s[48:51], 0 offset:268 ; 4-byte Folded Spill
	s_nop 0
	buffer_store_dword v170, off, s[48:51], 0 offset:272 ; 4-byte Folded Spill
	v_mul_f64 v[165:166], v[213:214], s[4:5]
	v_fma_f64 v[167:168], v[227:228], s[36:37], v[146:147]
	v_add_f64 v[144:145], v[148:149], v[144:145]
	v_mul_f64 v[169:170], v[219:220], s[28:29]
	buffer_store_dword v171, off, s[48:51], 0 offset:276 ; 4-byte Folded Spill
	s_nop 0
	buffer_store_dword v172, off, s[48:51], 0 offset:280 ; 4-byte Folded Spill
	buffer_store_dword v173, off, s[48:51], 0 offset:284 ; 4-byte Folded Spill
	s_nop 0
	buffer_store_dword v174, off, s[48:51], 0 offset:288 ; 4-byte Folded Spill
	buffer_store_dword v175, off, s[48:51], 0 offset:300 ; 4-byte Folded Spill
	s_nop 0
	buffer_store_dword v176, off, s[48:51], 0 offset:304 ; 4-byte Folded Spill
	v_mul_f64 v[175:176], v[229:230], s[30:31]
	v_fma_f64 v[171:172], v[239:240], s[14:15], v[165:166]
	v_fma_f64 v[146:147], v[227:228], s[30:31], v[146:147]
	v_add_f64 v[144:145], v[167:168], v[144:145]
	v_mul_f64 v[167:168], v[217:218], s[40:41]
	v_fma_f64 v[173:174], v[156:157], s[24:25], v[169:170]
	v_fma_f64 v[169:170], v[156:157], s[24:25], -v[169:170]
	v_add_f64 v[140:141], v[142:143], v[140:141]
	buffer_store_dword v179, off, s[48:51], 0 offset:308 ; 4-byte Folded Spill
	s_nop 0
	buffer_store_dword v180, off, s[48:51], 0 offset:312 ; 4-byte Folded Spill
	buffer_store_dword v177, off, s[48:51], 0 offset:316 ; 4-byte Folded Spill
	s_nop 0
	buffer_store_dword v178, off, s[48:51], 0 offset:320 ; 4-byte Folded Spill
	v_mul_f64 v[148:149], v[221:222], s[16:17]
	v_add_f64 v[144:145], v[171:172], v[144:145]
	v_fma_f64 v[171:172], v[205:206], s[0:1], v[167:168]
	v_add_f64 v[173:174], v[136:137], v[173:174]
	v_mul_f64 v[177:178], v[241:242], s[46:47]
	v_fma_f64 v[167:168], v[205:206], s[0:1], -v[167:168]
	v_add_f64 v[169:170], v[136:137], v[169:170]
	buffer_store_dword v246, off, s[48:51], 0 offset:120 ; 4-byte Folded Spill
	buffer_store_dword v247, off, s[48:51], 0 offset:124 ; 4-byte Folded Spill
	v_fma_f64 v[246:247], v[211:212], s[18:19], v[175:176]
	v_fma_f64 v[165:166], v[239:240], s[46:47], v[165:166]
	v_add_f64 v[140:141], v[146:147], v[140:141]
	v_add_f64 v[171:172], v[171:172], v[173:174]
	v_mul_f64 v[150:151], v[225:226], s[6:7]
	v_fma_f64 v[179:180], v[249:250], s[44:45], v[148:149]
	v_mul_f64 v[142:143], v[251:252], s[22:23]
	v_fma_f64 v[173:174], v[211:212], s[18:19], -v[175:176]
	v_add_f64 v[167:168], v[167:168], v[169:170]
	v_fma_f64 v[169:170], v[223:224], s[4:5], v[177:178]
	v_fma_f64 v[148:149], v[249:250], s[22:23], v[148:149]
	v_add_f64 v[171:172], v[246:247], v[171:172]
	v_add_f64 v[140:141], v[165:166], v[140:141]
	v_mul_f64 v[146:147], v[207:208], s[42:43]
	v_fma_f64 v[175:176], v[223:224], s[4:5], -v[177:178]
	v_fma_f64 v[165:166], v[203:204], s[26:27], v[150:151]
	v_add_f64 v[167:168], v[173:174], v[167:168]
	v_fma_f64 v[173:174], v[235:236], s[16:17], v[142:143]
	v_fma_f64 v[150:151], v[203:204], s[42:43], v[150:151]
	v_add_f64 v[169:170], v[169:170], v[171:172]
	v_add_f64 v[148:149], v[148:149], v[140:141]
	;; [unrolled: 1-line block ×3, first 2 shown]
	v_fma_f64 v[142:143], v[235:236], s[16:17], -v[142:143]
	v_fma_f64 v[171:172], v[243:244], s[6:7], v[146:147]
	v_add_f64 v[167:168], v[175:176], v[167:168]
	v_fma_f64 v[175:176], v[243:244], s[6:7], -v[146:147]
	v_mul_f64 v[24:25], v[225:226], s[24:25]
	v_add_f64 v[169:170], v[173:174], v[169:170]
	v_mul_f64 v[173:174], v[231:232], s[18:19]
	v_add_f64 v[146:147], v[150:151], v[148:149]
	v_mul_f64 v[148:149], v[219:220], s[30:31]
	v_mul_f64 v[177:178], v[217:218], s[42:43]
	v_add_f64 v[167:168], v[142:143], v[167:168]
	v_add_f64 v[142:143], v[165:166], v[144:145]
	v_mul_f64 v[165:166], v[253:254], s[6:7]
	buffer_store_dword v24, off, s[48:51], 0 offset:292 ; 4-byte Folded Spill
	s_nop 0
	buffer_store_dword v25, off, s[48:51], 0 offset:296 ; 4-byte Folded Spill
	v_fma_f64 v[150:151], v[158:159], s[36:37], v[173:174]
	buffer_store_dword v162, off, s[48:51], 0 offset:348 ; 4-byte Folded Spill
	s_nop 0
	buffer_store_dword v163, off, s[48:51], 0 offset:352 ; 4-byte Folded Spill
	v_fma_f64 v[179:180], v[156:157], s[18:19], v[148:149]
	buffer_store_dword v181, off, s[48:51], 0 offset:324 ; 4-byte Folded Spill
	s_nop 0
	buffer_store_dword v182, off, s[48:51], 0 offset:328 ; 4-byte Folded Spill
	buffer_store_dword v183, off, s[48:51], 0 offset:332 ; 4-byte Folded Spill
	s_nop 0
	buffer_store_dword v184, off, s[48:51], 0 offset:336 ; 4-byte Folded Spill
	;; [unrolled: 3-line block ×3, first 2 shown]
	v_add_f64 v[140:141], v[171:172], v[169:170]
	v_add_f64 v[144:145], v[175:176], v[167:168]
	v_mul_f64 v[171:172], v[209:210], s[4:5]
	v_fma_f64 v[175:176], v[215:216], s[26:27], v[165:166]
	v_add_f64 v[150:151], v[138:139], v[150:151]
	v_fma_f64 v[173:174], v[158:159], s[30:31], v[173:174]
	v_mul_f64 v[183:184], v[229:230], s[14:15]
	v_fma_f64 v[185:186], v[205:206], s[6:7], v[177:178]
	v_add_f64 v[179:180], v[136:137], v[179:180]
	buffer_store_dword v187, off, s[48:51], 0 offset:356 ; 4-byte Folded Spill
	s_nop 0
	buffer_store_dword v188, off, s[48:51], 0 offset:360 ; 4-byte Folded Spill
	buffer_store_dword v189, off, s[48:51], 0 offset:364 ; 4-byte Folded Spill
	s_nop 0
	buffer_store_dword v190, off, s[48:51], 0 offset:368 ; 4-byte Folded Spill
	v_mul_f64 v[162:163], v[213:214], s[24:25]
	v_fma_f64 v[181:182], v[227:228], s[46:47], v[171:172]
	v_add_f64 v[150:151], v[175:176], v[150:151]
	v_fma_f64 v[165:166], v[215:216], s[42:43], v[165:166]
	v_add_f64 v[173:174], v[138:139], v[173:174]
	v_mul_f64 v[187:188], v[241:242], s[38:39]
	v_fma_f64 v[148:149], v[156:157], s[18:19], -v[148:149]
	v_fma_f64 v[189:190], v[211:212], s[4:5], v[183:184]
	v_add_f64 v[179:180], v[185:186], v[179:180]
	v_mul_f64 v[169:170], v[221:222], s[0:1]
	v_fma_f64 v[175:176], v[239:240], s[28:29], v[162:163]
	v_add_f64 v[150:151], v[181:182], v[150:151]
	v_fma_f64 v[171:172], v[227:228], s[14:15], v[171:172]
	v_add_f64 v[165:166], v[165:166], v[173:174]
	v_mul_f64 v[173:174], v[251:252], s[40:41]
	v_fma_f64 v[177:178], v[205:206], s[6:7], -v[177:178]
	v_add_f64 v[148:149], v[136:137], v[148:149]
	v_fma_f64 v[181:182], v[223:224], s[24:25], v[187:188]
	v_add_f64 v[179:180], v[189:190], v[179:180]
	v_mul_f64 v[167:168], v[225:226], s[16:17]
	v_fma_f64 v[246:247], v[249:250], s[20:21], v[169:170]
	v_add_f64 v[150:151], v[175:176], v[150:151]
	v_fma_f64 v[162:163], v[239:240], s[38:39], v[162:163]
	v_add_f64 v[165:166], v[171:172], v[165:166]
	v_mul_f64 v[175:176], v[207:208], s[22:23]
	v_fma_f64 v[171:172], v[211:212], s[4:5], -v[183:184]
	v_add_f64 v[148:149], v[177:178], v[148:149]
	v_fma_f64 v[177:178], v[235:236], s[0:1], v[173:174]
	v_add_f64 v[179:180], v[181:182], v[179:180]
	v_fma_f64 v[181:182], v[203:204], s[44:45], v[167:168]
	v_fma_f64 v[169:170], v[249:250], s[40:41], v[169:170]
	v_add_f64 v[162:163], v[162:163], v[165:166]
	v_add_f64 v[150:151], v[246:247], v[150:151]
	v_fma_f64 v[165:166], v[223:224], s[24:25], -v[187:188]
	v_add_f64 v[148:149], v[171:172], v[148:149]
	v_fma_f64 v[171:172], v[243:244], s[16:17], v[175:176]
	v_add_f64 v[177:178], v[177:178], v[179:180]
	v_mul_f64 v[183:184], v[231:232], s[16:17]
	v_fma_f64 v[179:180], v[203:204], s[22:23], v[167:168]
	v_add_f64 v[162:163], v[169:170], v[162:163]
	v_add_f64 v[167:168], v[181:182], v[150:151]
	v_fma_f64 v[150:151], v[235:236], s[0:1], -v[173:174]
	v_add_f64 v[148:149], v[165:166], v[148:149]
	v_mul_f64 v[169:170], v[253:254], s[18:19]
	v_add_f64 v[165:166], v[171:172], v[177:178]
	v_mul_f64 v[173:174], v[219:220], s[22:23]
	v_fma_f64 v[177:178], v[158:159], s[44:45], v[183:184]
	v_add_f64 v[171:172], v[179:180], v[162:163]
	v_fma_f64 v[162:163], v[243:244], s[16:17], -v[175:176]
	v_mul_f64 v[175:176], v[209:210], s[0:1]
	v_add_f64 v[148:149], v[150:151], v[148:149]
	v_fma_f64 v[150:151], v[215:216], s[30:31], v[169:170]
	v_mul_f64 v[179:180], v[217:218], s[36:37]
	v_fma_f64 v[181:182], v[156:157], s[16:17], v[173:174]
	v_add_f64 v[177:178], v[138:139], v[177:178]
	buffer_store_dword v1, off, s[48:51], 0 offset:128 ; 4-byte Folded Spill
	buffer_store_dword v152, off, s[48:51], 0 offset:388 ; 4-byte Folded Spill
	s_nop 0
	buffer_store_dword v153, off, s[48:51], 0 offset:392 ; 4-byte Folded Spill
	v_mul_f64 v[187:188], v[213:214], s[6:7]
	v_fma_f64 v[189:190], v[227:228], s[20:21], v[175:176]
	v_fma_f64 v[183:184], v[158:159], s[22:23], v[183:184]
	v_mul_f64 v[246:247], v[229:230], s[40:41]
	v_fma_f64 v[152:153], v[205:206], s[18:19], v[179:180]
	v_add_f64 v[181:182], v[136:137], v[181:182]
	v_add_f64 v[150:151], v[150:151], v[177:178]
	buffer_store_dword v154, off, s[48:51], 0 offset:372 ; 4-byte Folded Spill
	s_nop 0
	buffer_store_dword v155, off, s[48:51], 0 offset:376 ; 4-byte Folded Spill
	buffer_store_dword v191, off, s[48:51], 0 offset:380 ; 4-byte Folded Spill
	s_nop 0
	buffer_store_dword v192, off, s[48:51], 0 offset:384 ; 4-byte Folded Spill
	v_mul_f64 v[177:178], v[221:222], s[24:25]
	v_fma_f64 v[154:155], v[239:240], s[42:43], v[187:188]
	v_fma_f64 v[169:170], v[215:216], s[36:37], v[169:170]
	v_add_f64 v[183:184], v[138:139], v[183:184]
	v_mul_f64 v[191:192], v[241:242], s[26:27]
	buffer_store_dword v193, off, s[48:51], 0 offset:112 ; 4-byte Folded Spill
	buffer_store_dword v194, off, s[48:51], 0 offset:116 ; 4-byte Folded Spill
	v_fma_f64 v[193:194], v[211:212], s[0:1], v[246:247]
	v_add_f64 v[152:153], v[152:153], v[181:182]
	v_add_f64 v[150:151], v[189:190], v[150:151]
	v_fma_f64 v[173:174], v[156:157], s[16:17], -v[173:174]
	v_mul_f64 v[185:186], v[225:226], s[4:5]
	v_fma_f64 v[181:182], v[249:250], s[28:29], v[177:178]
	v_fma_f64 v[175:176], v[227:228], s[40:41], v[175:176]
	v_add_f64 v[169:170], v[169:170], v[183:184]
	v_mul_f64 v[183:184], v[251:252], s[38:39]
	v_fma_f64 v[189:190], v[223:224], s[6:7], v[191:192]
	v_add_f64 v[152:153], v[193:194], v[152:153]
	v_add_f64 v[150:151], v[154:155], v[150:151]
	v_fma_f64 v[179:180], v[205:206], s[18:19], -v[179:180]
	v_add_f64 v[173:174], v[136:137], v[173:174]
	v_fma_f64 v[154:155], v[239:240], s[26:27], v[187:188]
	v_add_f64 v[169:170], v[175:176], v[169:170]
	v_mul_f64 v[187:188], v[207:208], s[46:47]
	v_fma_f64 v[175:176], v[235:236], s[24:25], v[183:184]
	v_add_f64 v[152:153], v[189:190], v[152:153]
	v_fma_f64 v[189:190], v[203:204], s[14:15], v[185:186]
	v_fma_f64 v[193:194], v[211:212], s[0:1], -v[246:247]
	v_add_f64 v[173:174], v[179:180], v[173:174]
	v_add_f64 v[150:151], v[181:182], v[150:151]
	v_fma_f64 v[181:182], v[203:204], s[46:47], v[185:186]
	v_fma_f64 v[185:186], v[223:224], s[6:7], -v[191:192]
	v_mul_f64 v[191:192], v[231:232], s[6:7]
	v_fma_f64 v[177:178], v[249:250], s[38:39], v[177:178]
	v_add_f64 v[154:155], v[154:155], v[169:170]
	v_fma_f64 v[179:180], v[243:244], s[4:5], v[187:188]
	v_add_f64 v[152:153], v[175:176], v[152:153]
	v_add_f64 v[193:194], v[193:194], v[173:174]
	;; [unrolled: 1-line block ×3, first 2 shown]
	v_mul_f64 v[148:149], v[253:254], s[24:25]
	v_fma_f64 v[162:163], v[158:159], s[42:43], v[191:192]
	v_fma_f64 v[191:192], v[158:159], s[26:27], v[191:192]
	v_add_f64 v[154:155], v[177:178], v[154:155]
	v_add_f64 v[175:176], v[189:190], v[150:151]
	;; [unrolled: 1-line block ×3, first 2 shown]
	v_fma_f64 v[152:153], v[235:236], s[24:25], -v[183:184]
	v_add_f64 v[177:178], v[185:186], v[193:194]
	v_mul_f64 v[179:180], v[209:210], s[16:17]
	v_fma_f64 v[183:184], v[215:216], s[38:39], v[148:149]
	v_mul_f64 v[185:186], v[219:220], s[26:27]
	v_add_f64 v[162:163], v[138:139], v[162:163]
	v_mul_f64 v[193:194], v[217:218], s[28:29]
	v_fma_f64 v[148:149], v[215:216], s[28:29], v[148:149]
	v_add_f64 v[191:192], v[138:139], v[191:192]
	v_add_f64 v[152:153], v[152:153], v[177:178]
	v_mul_f64 v[177:178], v[213:214], s[0:1]
	v_fma_f64 v[189:190], v[227:228], s[22:23], v[179:180]
	v_fma_f64 v[246:247], v[156:157], s[6:7], v[185:186]
	v_add_f64 v[162:163], v[183:184], v[162:163]
	v_mov_b32_e32 v25, v23
	v_mov_b32_e32 v24, v22
	;; [unrolled: 1-line block ×7, first 2 shown]
	v_mul_f64 v[183:184], v[221:222], s[4:5]
	v_fma_f64 v[195:196], v[239:240], s[20:21], v[177:178]
	v_mov_b32_e32 v3, v0
	v_mov_b32_e32 v0, v197
	;; [unrolled: 1-line block ×3, first 2 shown]
	v_mul_f64 v[197:198], v[229:230], s[44:45]
	v_fma_f64 v[199:200], v[205:206], s[24:25], v[193:194]
	v_add_f64 v[246:247], v[136:137], v[246:247]
	v_add_f64 v[162:163], v[189:190], v[162:163]
	v_fma_f64 v[185:186], v[156:157], s[6:7], -v[185:186]
	v_fma_f64 v[179:180], v[227:228], s[44:45], v[179:180]
	v_add_f64 v[148:149], v[148:149], v[191:192]
	v_add_f64 v[150:151], v[181:182], v[154:155]
	v_mul_f64 v[154:155], v[225:226], s[18:19]
	v_fma_f64 v[189:190], v[249:250], s[46:47], v[183:184]
	v_fma_f64 v[191:192], v[211:212], s[16:17], v[197:198]
	v_add_f64 v[199:200], v[199:200], v[246:247]
	v_add_f64 v[162:163], v[195:196], v[162:163]
	v_fma_f64 v[193:194], v[205:206], s[24:25], -v[193:194]
	v_add_f64 v[185:186], v[136:137], v[185:186]
	v_fma_f64 v[177:178], v[239:240], s[40:41], v[177:178]
	v_add_f64 v[148:149], v[179:180], v[148:149]
	v_fma_f64 v[181:182], v[243:244], s[4:5], -v[187:188]
	v_fma_f64 v[187:188], v[203:204], s[36:37], v[154:155]
	v_mul_f64 v[195:196], v[251:252], s[14:15]
	v_fma_f64 v[179:180], v[223:224], s[0:1], v[201:202]
	v_add_f64 v[191:192], v[191:192], v[199:200]
	v_add_f64 v[162:163], v[189:190], v[162:163]
	v_fma_f64 v[189:190], v[211:212], s[16:17], -v[197:198]
	v_add_f64 v[185:186], v[193:194], v[185:186]
	v_fma_f64 v[183:184], v[249:250], s[14:15], v[183:184]
	v_add_f64 v[177:178], v[177:178], v[148:149]
	v_fma_f64 v[197:198], v[235:236], s[4:5], v[195:196]
	v_add_f64 v[148:149], v[181:182], v[152:153]
	v_add_f64 v[191:192], v[179:180], v[191:192]
	;; [unrolled: 1-line block ×3, first 2 shown]
	v_fma_f64 v[154:155], v[203:204], s[30:31], v[154:155]
	v_add_f64 v[181:182], v[189:190], v[185:186]
	v_mul_f64 v[185:186], v[231:232], s[4:5]
	v_add_f64 v[162:163], v[183:184], v[177:178]
	v_mul_f64 v[193:194], v[207:208], s[30:31]
	v_mul_f64 v[189:190], v[221:222], s[6:7]
	v_add_f64 v[183:184], v[197:198], v[191:192]
	buffer_load_dword v247, off, s[48:51], 0 offset:124 ; 4-byte Folded Reload
	buffer_load_dword v246, off, s[48:51], 0 offset:120 ; 4-byte Folded Reload
	v_fma_f64 v[152:153], v[223:224], s[0:1], -v[201:202]
	v_mul_f64 v[201:202], v[219:220], s[14:15]
	v_fma_f64 v[191:192], v[158:159], s[46:47], v[185:186]
	v_add_f64 v[221:222], v[154:155], v[162:163]
	v_mul_f64 v[154:155], v[253:254], s[16:17]
	v_fma_f64 v[177:178], v[243:244], s[18:19], v[193:194]
	v_fma_f64 v[162:163], v[243:244], s[18:19], -v[193:194]
	v_mul_f64 v[193:194], v[213:214], s[18:19]
	buffer_load_dword v213, off, s[48:51], 0 offset:308 ; 4-byte Folded Reload
	buffer_load_dword v214, off, s[48:51], 0 offset:312 ; 4-byte Folded Reload
	;; [unrolled: 1-line block ×4, first 2 shown]
	v_add_f64 v[191:192], v[138:139], v[191:192]
	v_mul_f64 v[197:198], v[209:210], s[24:25]
	v_fma_f64 v[199:200], v[215:216], s[44:45], v[154:155]
	v_fma_f64 v[158:159], v[158:159], s[14:15], v[185:186]
	v_fma_f64 v[187:188], v[235:236], s[4:5], -v[195:196]
	v_fma_f64 v[209:210], v[239:240], s[30:31], v[193:194]
	v_add_f64 v[152:153], v[152:153], v[181:182]
	v_mul_f64 v[181:182], v[225:226], s[0:1]
	v_fma_f64 v[154:155], v[215:216], s[22:23], v[154:155]
	v_fma_f64 v[185:186], v[227:228], s[38:39], v[197:198]
	v_add_f64 v[191:192], v[199:200], v[191:192]
	buffer_load_dword v199, off, s[48:51], 0 offset:300 ; 4-byte Folded Reload
	buffer_load_dword v200, off, s[48:51], 0 offset:304 ; 4-byte Folded Reload
	v_add_f64 v[158:159], v[138:139], v[158:159]
	v_fma_f64 v[193:194], v[239:240], s[36:37], v[193:194]
	v_add_f64 v[187:188], v[187:188], v[152:153]
	v_fma_f64 v[152:153], v[249:250], s[26:27], v[189:190]
	v_fma_f64 v[195:196], v[203:204], s[20:21], v[181:182]
	;; [unrolled: 1-line block ×3, first 2 shown]
	v_add_f64 v[185:186], v[185:186], v[191:192]
	v_fma_f64 v[191:192], v[227:228], s[28:29], v[197:198]
	v_add_f64 v[154:155], v[154:155], v[158:159]
	v_mul_f64 v[217:218], v[217:218], s[22:23]
	v_fma_f64 v[225:226], v[156:157], s[4:5], v[201:202]
	v_fma_f64 v[156:157], v[156:157], s[4:5], -v[201:202]
	v_mul_f64 v[215:216], v[229:230], s[28:29]
	v_mul_f64 v[158:159], v[241:242], s[36:37]
	v_add_f64 v[185:186], v[209:210], v[185:186]
	v_add_f64 v[177:178], v[177:178], v[183:184]
	;; [unrolled: 1-line block ×3, first 2 shown]
	v_fma_f64 v[201:202], v[205:206], s[16:17], -v[217:218]
	v_add_f64 v[225:226], v[136:137], v[225:226]
	v_mul_f64 v[191:192], v[251:252], s[42:43]
	v_add_f64 v[185:186], v[152:153], v[185:186]
	v_fma_f64 v[152:153], v[249:250], s[42:43], v[189:190]
	v_add_f64 v[154:155], v[193:194], v[154:155]
	v_mul_f64 v[193:194], v[207:208], s[40:41]
	v_add_f64 v[183:184], v[195:196], v[185:186]
	v_add_f64 v[152:153], v[152:153], v[154:155]
	s_waitcnt vmcnt(4)
	v_add_f64 v[213:214], v[138:139], v[213:214]
	s_waitcnt vmcnt(2)
	;; [unrolled: 2-line block ×3, first 2 shown]
	v_add_f64 v[199:200], v[213:214], v[199:200]
	buffer_load_dword v213, off, s[48:51], 0 offset:284 ; 4-byte Folded Reload
	buffer_load_dword v214, off, s[48:51], 0 offset:288 ; 4-byte Folded Reload
	;; [unrolled: 1-line block ×4, first 2 shown]
	s_waitcnt vmcnt(2)
	v_add_f64 v[213:214], v[219:220], v[213:214]
	s_waitcnt vmcnt(0)
	v_add_f64 v[197:198], v[199:200], v[197:198]
	buffer_load_dword v199, off, s[48:51], 0 offset:268 ; 4-byte Folded Reload
	buffer_load_dword v200, off, s[48:51], 0 offset:272 ; 4-byte Folded Reload
	;; [unrolled: 1-line block ×4, first 2 shown]
	v_fma_f64 v[219:220], v[205:206], s[16:17], v[217:218]
	v_add_f64 v[219:220], v[219:220], v[225:226]
	s_waitcnt vmcnt(2)
	v_add_f64 v[199:200], v[213:214], v[199:200]
	s_waitcnt vmcnt(0)
	v_add_f64 v[197:198], v[197:198], v[209:210]
	buffer_load_dword v209, off, s[48:51], 0 offset:348 ; 4-byte Folded Reload
	buffer_load_dword v210, off, s[48:51], 0 offset:352 ; 4-byte Folded Reload
	;; [unrolled: 1-line block ×4, first 2 shown]
	v_fma_f64 v[213:214], v[211:212], s[24:25], v[215:216]
	v_add_f64 v[213:214], v[213:214], v[219:220]
	v_add_f64 v[219:220], v[162:163], v[187:188]
	s_waitcnt vmcnt(2)
	v_add_f64 v[199:200], v[199:200], v[209:210]
	s_waitcnt vmcnt(0)
	v_add_f64 v[189:190], v[197:198], v[189:190]
	buffer_load_dword v197, off, s[48:51], 0 offset:356 ; 4-byte Folded Reload
	buffer_load_dword v198, off, s[48:51], 0 offset:360 ; 4-byte Folded Reload
	buffer_load_dword v203, off, s[48:51], 0 offset:252 ; 4-byte Folded Reload
	buffer_load_dword v204, off, s[48:51], 0 offset:256 ; 4-byte Folded Reload
	v_fma_f64 v[209:210], v[223:224], s[18:19], v[158:159]
	v_fma_f64 v[158:159], v[223:224], s[18:19], -v[158:159]
	v_add_f64 v[207:208], v[209:210], v[213:214]
	s_waitcnt vmcnt(2)
	v_add_f64 v[197:198], v[199:200], v[197:198]
	s_waitcnt vmcnt(0)
	v_add_f64 v[203:204], v[4:5], v[203:204]
	buffer_load_dword v4, off, s[48:51], 0 offset:340 ; 4-byte Folded Reload
	buffer_load_dword v5, off, s[48:51], 0 offset:344 ; 4-byte Folded Reload
	v_fma_f64 v[199:200], v[235:236], s[6:7], v[191:192]
	v_add_f64 v[138:139], v[138:139], v[203:204]
	v_add_f64 v[199:200], v[199:200], v[207:208]
	s_waitcnt vmcnt(0)
	v_add_f64 v[189:190], v[189:190], v[4:5]
	buffer_load_dword v4, off, s[48:51], 0 offset:332 ; 4-byte Folded Reload
	buffer_load_dword v5, off, s[48:51], 0 offset:336 ; 4-byte Folded Reload
	s_waitcnt vmcnt(0)
	v_add_f64 v[197:198], v[197:198], v[4:5]
	buffer_load_dword v4, off, s[48:51], 0 offset:228 ; 4-byte Folded Reload
	buffer_load_dword v5, off, s[48:51], 0 offset:232 ; 4-byte Folded Reload
	v_add_f64 v[197:198], v[197:198], v[1:2]
	s_waitcnt vmcnt(0)
	v_add_f64 v[154:155], v[4:5], -v[6:7]
	buffer_load_dword v4, off, s[48:51], 0 offset:236 ; 4-byte Folded Reload
	buffer_load_dword v5, off, s[48:51], 0 offset:240 ; 4-byte Folded Reload
	v_add_f64 v[154:155], v[136:137], v[154:155]
	v_add_f64 v[136:137], v[136:137], v[156:157]
	v_fma_f64 v[156:157], v[211:212], s[24:25], -v[215:216]
	v_add_f64 v[136:137], v[201:202], v[136:137]
	v_add_f64 v[136:137], v[156:157], v[136:137]
	v_fma_f64 v[156:157], v[235:236], s[6:7], -v[191:192]
	v_add_f64 v[136:137], v[158:159], v[136:137]
	v_add_f64 v[136:137], v[156:157], v[136:137]
	s_waitcnt vmcnt(0)
	v_add_f64 v[205:206], v[8:9], v[4:5]
	buffer_load_dword v4, off, s[48:51], 0 offset:324 ; 4-byte Folded Reload
	buffer_load_dword v5, off, s[48:51], 0 offset:328 ; 4-byte Folded Reload
	;; [unrolled: 1-line block ×4, first 2 shown]
	v_add_f64 v[138:139], v[205:206], v[138:139]
	s_waitcnt vmcnt(2)
	v_add_f64 v[189:190], v[189:190], v[4:5]
	s_waitcnt vmcnt(0)
	v_add_f64 v[203:204], v[1:2], -v[10:11]
	buffer_load_dword v1, off, s[48:51], 0 offset:220 ; 4-byte Folded Reload
	buffer_load_dword v2, off, s[48:51], 0 offset:224 ; 4-byte Folded Reload
	v_add_f64 v[154:155], v[203:204], v[154:155]
	s_waitcnt vmcnt(0)
	v_add_f64 v[209:210], v[12:13], v[1:2]
	buffer_load_dword v1, off, s[48:51], 0 offset:388 ; 4-byte Folded Reload
	buffer_load_dword v2, off, s[48:51], 0 offset:392 ; 4-byte Folded Reload
	v_add_f64 v[138:139], v[209:210], v[138:139]
	s_waitcnt vmcnt(0)
	v_add_f64 v[189:190], v[189:190], v[1:2]
	buffer_load_dword v1, off, s[48:51], 0 offset:128 ; 4-byte Folded Reload
	buffer_load_dword v4, off, s[48:51], 0 offset:244 ; 4-byte Folded Reload
	;; [unrolled: 1-line block ×3, first 2 shown]
	v_add_f64 v[189:190], v[189:190], v[20:21]
	s_waitcnt vmcnt(0)
	v_add_f64 v[197:198], v[197:198], v[4:5]
	buffer_load_dword v4, off, s[48:51], 0 offset:204 ; 4-byte Folded Reload
	buffer_load_dword v5, off, s[48:51], 0 offset:208 ; 4-byte Folded Reload
	s_waitcnt vmcnt(0)
	v_add_f64 v[205:206], v[4:5], -v[14:15]
	buffer_load_dword v4, off, s[48:51], 0 offset:196 ; 4-byte Folded Reload
	buffer_load_dword v5, off, s[48:51], 0 offset:200 ; 4-byte Folded Reload
	v_add_f64 v[154:155], v[205:206], v[154:155]
	s_waitcnt vmcnt(0)
	v_add_f64 v[201:202], v[16:17], v[4:5]
	buffer_load_dword v4, off, s[48:51], 0 offset:380 ; 4-byte Folded Reload
	buffer_load_dword v5, off, s[48:51], 0 offset:384 ; 4-byte Folded Reload
	v_add_f64 v[138:139], v[201:202], v[138:139]
	s_waitcnt vmcnt(0)
	v_add_f64 v[197:198], v[197:198], v[4:5]
	buffer_load_dword v4, off, s[48:51], 0 offset:172 ; 4-byte Folded Reload
	buffer_load_dword v5, off, s[48:51], 0 offset:176 ; 4-byte Folded Reload
	s_waitcnt vmcnt(0)
	v_add_f64 v[203:204], v[4:5], -v[18:19]
	buffer_load_dword v4, off, s[48:51], 0 offset:180 ; 4-byte Folded Reload
	buffer_load_dword v5, off, s[48:51], 0 offset:184 ; 4-byte Folded Reload
	v_add_f64 v[154:155], v[203:204], v[154:155]
	v_fma_f64 v[203:204], v[243:244], s[0:1], -v[193:194]
	v_fma_f64 v[193:194], v[243:244], s[0:1], v[193:194]
	v_add_f64 v[136:137], v[203:204], v[136:137]
	s_waitcnt vmcnt(0)
	v_add_f64 v[191:192], v[22:23], v[4:5]
	buffer_load_dword v4, off, s[48:51], 0 offset:188 ; 4-byte Folded Reload
	buffer_load_dword v5, off, s[48:51], 0 offset:192 ; 4-byte Folded Reload
	v_add_f64 v[191:192], v[191:192], v[138:139]
	v_add_f64 v[138:139], v[181:182], v[152:153]
	;; [unrolled: 1-line block ×3, first 2 shown]
	s_waitcnt vmcnt(0)
	v_add_f64 v[189:190], v[189:190], v[4:5]
	buffer_load_dword v4, off, s[48:51], 0 offset:372 ; 4-byte Folded Reload
	buffer_load_dword v5, off, s[48:51], 0 offset:376 ; 4-byte Folded Reload
	s_waitcnt vmcnt(0)
	v_add_f64 v[197:198], v[197:198], v[4:5]
	buffer_load_dword v4, off, s[48:51], 0 offset:164 ; 4-byte Folded Reload
	buffer_load_dword v5, off, s[48:51], 0 offset:168 ; 4-byte Folded Reload
	s_waitcnt vmcnt(0)
	v_add_f64 v[201:202], v[4:5], -v[24:25]
	buffer_load_dword v4, off, s[48:51], 0 offset:292 ; 4-byte Folded Reload
	buffer_load_dword v5, off, s[48:51], 0 offset:296 ; 4-byte Folded Reload
	v_add_f64 v[201:202], v[201:202], v[154:155]
	s_waitcnt vmcnt(0)
	v_add_f64 v[158:159], v[237:238], v[4:5]
	buffer_load_dword v4, off, s[48:51], 0 offset:148 ; 4-byte Folded Reload
	buffer_load_dword v5, off, s[48:51], 0 offset:152 ; 4-byte Folded Reload
	v_add_f64 v[158:159], v[158:159], v[191:192]
	s_waitcnt vmcnt(0)
	v_add_f64 v[189:190], v[189:190], v[4:5]
	buffer_load_dword v4, off, s[48:51], 0 offset:140 ; 4-byte Folded Reload
	buffer_load_dword v5, off, s[48:51], 0 offset:144 ; 4-byte Folded Reload
	s_waitcnt vmcnt(0)
	v_add_f64 v[197:198], v[197:198], v[4:5]
	buffer_load_dword v4, off, s[48:51], 0 offset:156 ; 4-byte Folded Reload
	buffer_load_dword v5, off, s[48:51], 0 offset:160 ; 4-byte Folded Reload
	v_add_f64 v[152:153], v[197:198], v[26:27]
	v_mov_b32_e32 v197, v0
	v_mov_b32_e32 v0, v3
	s_waitcnt vmcnt(0)
	v_add_f64 v[205:206], v[4:5], -v[233:234]
	buffer_load_dword v4, off, s[48:51], 0 offset:132 ; 4-byte Folded Reload
	buffer_load_dword v5, off, s[48:51], 0 offset:136 ; 4-byte Folded Reload
	;; [unrolled: 1-line block ×4, first 2 shown]
	v_add_f64 v[156:157], v[205:206], v[201:202]
	s_waitcnt vmcnt(2)
	v_add_f64 v[154:155], v[189:190], v[4:5]
	ds_write_b128 v245, v[152:155]
	v_lshl_add_u32 v152, v247, 4, v246
	ds_write_b128 v152, v[156:159] offset:192
	ds_write_b128 v152, v[136:139] offset:384
	;; [unrolled: 1-line block ×12, first 2 shown]
.LBB0_5:
	s_or_b64 exec, exec, s[34:35]
	s_waitcnt vmcnt(0) lgkmcnt(0)
	s_barrier
	global_load_dwordx4 v[140:143], v[160:161], off offset:2496
	ds_read_b128 v[136:139], v245
	s_add_u32 s0, s12, 0x9c0
	s_addc_u32 s1, s13, 0
	v_lshlrev_b32_e32 v148, 4, v247
	s_mov_b32 s5, 0x3febb67a
	s_waitcnt vmcnt(0) lgkmcnt(0)
	v_mul_f64 v[144:145], v[138:139], v[142:143]
	v_fma_f64 v[144:145], v[136:137], v[140:141], -v[144:145]
	v_mul_f64 v[136:137], v[136:137], v[142:143]
	v_fma_f64 v[146:147], v[138:139], v[140:141], v[136:137]
	global_load_dwordx4 v[140:143], v148, s[0:1] offset:832
	ds_read_b128 v[136:139], v245 offset:832
	ds_write_b128 v245, v[144:147]
	s_waitcnt vmcnt(0) lgkmcnt(1)
	v_mul_f64 v[144:145], v[138:139], v[142:143]
	v_fma_f64 v[144:145], v[136:137], v[140:141], -v[144:145]
	v_mul_f64 v[136:137], v[136:137], v[142:143]
	v_fma_f64 v[146:147], v[138:139], v[140:141], v[136:137]
	global_load_dwordx4 v[140:143], v148, s[0:1] offset:1664
	ds_read_b128 v[136:139], v245 offset:1664
	ds_write_b128 v245, v[144:147] offset:832
	s_waitcnt vmcnt(0) lgkmcnt(1)
	v_mul_f64 v[144:145], v[138:139], v[142:143]
	v_fma_f64 v[144:145], v[136:137], v[140:141], -v[144:145]
	v_mul_f64 v[136:137], v[136:137], v[142:143]
	v_fma_f64 v[146:147], v[138:139], v[140:141], v[136:137]
	global_load_dwordx4 v[140:143], v148, s[0:1] offset:208
	ds_read_b128 v[136:139], v245 offset:208
	ds_write_b128 v245, v[144:147] offset:1664
	;; [unrolled: 8-line block ×9, first 2 shown]
	s_waitcnt vmcnt(0) lgkmcnt(1)
	v_mul_f64 v[144:145], v[138:139], v[142:143]
	v_fma_f64 v[144:145], v[136:137], v[140:141], -v[144:145]
	v_mul_f64 v[136:137], v[136:137], v[142:143]
	v_fma_f64 v[146:147], v[138:139], v[140:141], v[136:137]
	global_load_dwordx4 v[140:143], v148, s[0:1] offset:2288
	ds_read_b128 v[136:139], v245 offset:2288
	s_mov_b32 s0, 0xe8584caa
	s_mov_b32 s1, 0xbfebb67a
	;; [unrolled: 1-line block ×3, first 2 shown]
	ds_write_b128 v245, v[144:147] offset:1456
	s_waitcnt vmcnt(0) lgkmcnt(1)
	v_mul_f64 v[144:145], v[138:139], v[142:143]
	v_fma_f64 v[144:145], v[136:137], v[140:141], -v[144:145]
	v_mul_f64 v[136:137], v[136:137], v[142:143]
	v_fma_f64 v[146:147], v[138:139], v[140:141], v[136:137]
	ds_write_b128 v245, v[144:147] offset:2288
	s_waitcnt lgkmcnt(0)
	s_barrier
	ds_read_b128 v[165:168], v245
	ds_read_b128 v[169:172], v245 offset:832
	ds_read_b128 v[173:176], v245 offset:1664
	;; [unrolled: 1-line block ×11, first 2 shown]
	s_waitcnt lgkmcnt(9)
	v_add_f64 v[138:139], v[169:170], v[173:174]
	v_add_f64 v[189:190], v[171:172], -v[175:176]
	v_add_f64 v[136:137], v[165:166], v[169:170]
	v_add_f64 v[169:170], v[169:170], -v[173:174]
	s_waitcnt lgkmcnt(0)
	s_barrier
	v_fma_f64 v[138:139], v[138:139], -0.5, v[165:166]
	v_add_f64 v[136:137], v[136:137], v[173:174]
	v_fma_f64 v[165:166], v[189:190], s[0:1], v[138:139]
	v_fma_f64 v[189:190], v[189:190], s[4:5], v[138:139]
	v_add_f64 v[138:139], v[167:168], v[171:172]
	v_add_f64 v[171:172], v[171:172], v[175:176]
	;; [unrolled: 1-line block ×3, first 2 shown]
	v_fma_f64 v[171:172], v[171:172], -0.5, v[167:168]
	v_add_f64 v[175:176], v[183:184], -v[187:188]
	v_fma_f64 v[167:168], v[169:170], s[4:5], v[171:172]
	v_fma_f64 v[191:192], v[169:170], s[0:1], v[171:172]
	v_add_f64 v[171:172], v[181:182], v[185:186]
	v_add_f64 v[169:170], v[177:178], v[181:182]
	v_add_f64 v[181:182], v[181:182], -v[185:186]
	v_fma_f64 v[171:172], v[171:172], -0.5, v[177:178]
	v_add_f64 v[169:170], v[169:170], v[185:186]
	v_add_f64 v[185:186], v[158:159], -v[162:163]
	v_fma_f64 v[173:174], v[175:176], s[0:1], v[171:172]
	v_fma_f64 v[177:178], v[175:176], s[4:5], v[171:172]
	v_add_f64 v[171:172], v[179:180], v[183:184]
	v_add_f64 v[175:176], v[183:184], v[187:188]
	;; [unrolled: 1-line block ×4, first 2 shown]
	v_fma_f64 v[179:180], v[175:176], -0.5, v[179:180]
	v_fma_f64 v[183:184], v[183:184], -0.5, v[152:153]
	v_fma_f64 v[175:176], v[181:182], s[4:5], v[179:180]
	v_fma_f64 v[179:180], v[181:182], s[0:1], v[179:180]
	v_add_f64 v[181:182], v[152:153], v[156:157]
	v_fma_f64 v[152:153], v[185:186], s[0:1], v[183:184]
	v_fma_f64 v[185:186], v[185:186], s[4:5], v[183:184]
	v_add_f64 v[183:184], v[154:155], v[158:159]
	v_add_f64 v[158:159], v[158:159], v[162:163]
	v_add_f64 v[156:157], v[156:157], -v[160:161]
	v_add_f64 v[181:182], v[181:182], v[160:161]
	v_add_f64 v[160:161], v[146:147], -v[150:151]
	v_add_f64 v[183:184], v[183:184], v[162:163]
	v_fma_f64 v[158:159], v[158:159], -0.5, v[154:155]
	v_fma_f64 v[154:155], v[156:157], s[4:5], v[158:159]
	v_fma_f64 v[187:188], v[156:157], s[0:1], v[158:159]
	v_add_f64 v[158:159], v[144:145], v[148:149]
	v_add_f64 v[156:157], v[140:141], v[144:145]
	v_add_f64 v[144:145], v[144:145], -v[148:149]
	v_fma_f64 v[158:159], v[158:159], -0.5, v[140:141]
	v_add_f64 v[156:157], v[156:157], v[148:149]
	v_fma_f64 v[140:141], v[160:161], s[0:1], v[158:159]
	v_fma_f64 v[160:161], v[160:161], s[4:5], v[158:159]
	v_add_f64 v[158:159], v[142:143], v[146:147]
	v_add_f64 v[146:147], v[146:147], v[150:151]
	;; [unrolled: 1-line block ×3, first 2 shown]
	v_fma_f64 v[146:147], v[146:147], -0.5, v[142:143]
	v_fma_f64 v[142:143], v[144:145], s[4:5], v[146:147]
	v_fma_f64 v[162:163], v[144:145], s[0:1], v[146:147]
	ds_write_b128 v193, v[136:139]
	ds_write_b128 v193, v[165:168] offset:16
	ds_write_b128 v193, v[189:192] offset:32
	ds_write_b128 v194, v[169:172]
	ds_write_b128 v194, v[173:176] offset:16
	ds_write_b128 v194, v[177:180] offset:32
	;; [unrolled: 3-line block ×4, first 2 shown]
	s_waitcnt lgkmcnt(0)
	s_barrier
	ds_read_b128 v[136:139], v245
	ds_read_b128 v[140:143], v245 offset:624
	ds_read_b128 v[144:147], v245 offset:1248
	;; [unrolled: 1-line block ×11, first 2 shown]
	s_waitcnt lgkmcnt(10)
	v_mul_f64 v[185:186], v[86:87], v[142:143]
	v_mul_f64 v[86:87], v[86:87], v[140:141]
	s_waitcnt lgkmcnt(0)
	s_barrier
	v_fma_f64 v[185:186], v[84:85], v[140:141], v[185:186]
	v_fma_f64 v[84:85], v[84:85], v[142:143], -v[86:87]
	v_mul_f64 v[86:87], v[74:75], v[146:147]
	v_mul_f64 v[74:75], v[74:75], v[144:145]
	v_fma_f64 v[86:87], v[72:73], v[144:145], v[86:87]
	v_fma_f64 v[72:73], v[72:73], v[146:147], -v[74:75]
	v_mul_f64 v[74:75], v[66:67], v[150:151]
	v_mul_f64 v[66:67], v[66:67], v[148:149]
	v_add_f64 v[86:87], v[136:137], -v[86:87]
	v_fma_f64 v[74:75], v[64:65], v[148:149], v[74:75]
	v_fma_f64 v[64:65], v[64:65], v[150:151], -v[66:67]
	v_mul_f64 v[66:67], v[102:103], v[158:159]
	v_fma_f64 v[140:141], v[100:101], v[156:157], v[66:67]
	v_mul_f64 v[66:67], v[102:103], v[156:157]
	v_fma_f64 v[100:101], v[100:101], v[158:159], -v[66:67]
	v_mul_f64 v[66:67], v[98:99], v[162:163]
	v_fma_f64 v[102:103], v[96:97], v[160:161], v[66:67]
	v_mul_f64 v[66:67], v[98:99], v[160:161]
	v_add_f64 v[102:103], v[152:153], -v[102:103]
	v_fma_f64 v[96:97], v[96:97], v[162:163], -v[66:67]
	v_mul_f64 v[66:67], v[90:91], v[167:168]
	v_fma_f64 v[98:99], v[88:89], v[165:166], v[66:67]
	v_mul_f64 v[66:67], v[90:91], v[165:166]
	v_add_f64 v[90:91], v[185:186], -v[74:75]
	;; [unrolled: 5-line block ×3, first 2 shown]
	v_fma_f64 v[146:147], v[120:121], v[175:176], -v[66:67]
	v_mul_f64 v[66:67], v[118:119], v[179:180]
	v_fma_f64 v[98:99], v[140:141], 2.0, -v[122:123]
	v_fma_f64 v[148:149], v[116:117], v[177:178], v[66:67]
	v_mul_f64 v[66:67], v[118:119], v[177:178]
	v_add_f64 v[140:141], v[169:170], -v[148:149]
	v_fma_f64 v[150:151], v[116:117], v[179:180], -v[66:67]
	v_mul_f64 v[66:67], v[114:115], v[183:184]
	v_add_f64 v[116:117], v[84:85], -v[64:65]
	v_fma_f64 v[64:65], v[185:186], 2.0, -v[90:91]
	v_fma_f64 v[156:157], v[112:113], v[181:182], v[66:67]
	v_mul_f64 v[66:67], v[114:115], v[181:182]
	v_add_f64 v[114:115], v[138:139], -v[72:73]
	v_fma_f64 v[74:75], v[84:85], 2.0, -v[116:117]
	v_add_f64 v[148:149], v[144:145], -v[156:157]
	v_fma_f64 v[112:113], v[112:113], v[183:184], -v[66:67]
	v_fma_f64 v[66:67], v[136:137], 2.0, -v[86:87]
	v_fma_f64 v[88:89], v[138:139], 2.0, -v[114:115]
	v_add_f64 v[90:91], v[114:115], -v[90:91]
	v_add_f64 v[136:137], v[100:101], -v[142:143]
	v_add_f64 v[142:143], v[171:172], -v[150:151]
	v_add_f64 v[150:151], v[146:147], -v[112:113]
	v_add_f64 v[72:73], v[66:67], -v[64:65]
	v_add_f64 v[74:75], v[88:89], -v[74:75]
	v_fma_f64 v[112:113], v[144:145], 2.0, -v[148:149]
	v_fma_f64 v[100:101], v[100:101], 2.0, -v[136:137]
	;; [unrolled: 1-line block ×5, first 2 shown]
	v_add_f64 v[88:89], v[86:87], v[116:117]
	v_fma_f64 v[84:85], v[86:87], 2.0, -v[88:89]
	v_fma_f64 v[86:87], v[114:115], 2.0, -v[90:91]
	v_add_f64 v[114:115], v[154:155], -v[96:97]
	v_fma_f64 v[96:97], v[152:153], 2.0, -v[102:103]
	v_fma_f64 v[120:121], v[154:155], 2.0, -v[114:115]
	v_add_f64 v[116:117], v[96:97], -v[98:99]
	v_add_f64 v[122:123], v[114:115], -v[122:123]
	;; [unrolled: 1-line block ×3, first 2 shown]
	v_fma_f64 v[96:97], v[96:97], 2.0, -v[116:117]
	v_fma_f64 v[98:99], v[120:121], 2.0, -v[118:119]
	v_add_f64 v[120:121], v[102:103], v[136:137]
	v_fma_f64 v[136:137], v[169:170], 2.0, -v[140:141]
	v_fma_f64 v[100:101], v[102:103], 2.0, -v[120:121]
	;; [unrolled: 1-line block ×4, first 2 shown]
	v_add_f64 v[112:113], v[136:137], -v[112:113]
	v_add_f64 v[114:115], v[138:139], -v[114:115]
	v_fma_f64 v[144:145], v[136:137], 2.0, -v[112:113]
	v_add_f64 v[136:137], v[140:141], v[150:151]
	v_fma_f64 v[146:147], v[138:139], 2.0, -v[114:115]
	v_add_f64 v[138:139], v[142:143], -v[148:149]
	v_fma_f64 v[140:141], v[140:141], 2.0, -v[136:137]
	v_fma_f64 v[142:143], v[142:143], 2.0, -v[138:139]
	ds_write_b128 v197, v[64:67]
	ds_write_b128 v197, v[84:87] offset:48
	ds_write_b128 v197, v[72:75] offset:96
	ds_write_b128 v197, v[88:91] offset:144
	ds_write_b128 v1, v[96:99]
	ds_write_b128 v1, v[100:103] offset:48
	ds_write_b128 v1, v[116:119] offset:96
	ds_write_b128 v1, v[120:123] offset:144
	;; [unrolled: 4-line block ×3, first 2 shown]
	s_waitcnt lgkmcnt(0)
	s_barrier
	s_and_saveexec_b64 s[0:1], vcc
	s_cbranch_execz .LBB0_7
; %bb.6:
	ds_read_b128 v[64:67], v245
	ds_read_b128 v[84:87], v245 offset:192
	ds_read_b128 v[72:75], v245 offset:384
	;; [unrolled: 1-line block ×12, first 2 shown]
.LBB0_7:
	s_or_b64 exec, exec, s[0:1]
	s_and_saveexec_b64 s[0:1], vcc
	s_cbranch_execz .LBB0_9
; %bb.8:
	s_waitcnt lgkmcnt(6)
	v_mul_f64 v[148:149], v[110:111], v[118:119]
	s_waitcnt lgkmcnt(5)
	v_mul_f64 v[150:151], v[106:107], v[122:123]
	v_mul_f64 v[152:153], v[126:127], v[102:103]
	s_waitcnt lgkmcnt(4)
	v_mul_f64 v[154:155], v[94:95], v[146:147]
	v_mul_f64 v[156:157], v[110:111], v[116:117]
	;; [unrolled: 1-line block ×3, first 2 shown]
	s_mov_b32 s16, 0x4bc48dbf
	s_mov_b32 s17, 0xbfcea1e5
	v_fma_f64 v[110:111], v[108:109], v[116:117], v[148:149]
	v_fma_f64 v[106:107], v[104:105], v[120:121], v[150:151]
	v_mul_f64 v[116:117], v[126:127], v[100:101]
	v_fma_f64 v[120:121], v[124:125], v[100:101], v[152:153]
	v_fma_f64 v[100:101], v[92:93], v[144:145], v[154:155]
	v_mul_f64 v[144:145], v[94:95], v[144:145]
	v_fma_f64 v[94:95], v[104:105], v[122:123], -v[158:159]
	v_mul_f64 v[104:105], v[62:63], v[98:99]
	s_waitcnt lgkmcnt(3)
	v_mul_f64 v[148:149], v[130:131], v[142:143]
	s_waitcnt lgkmcnt(0)
	v_mul_f64 v[150:151], v[82:83], v[134:135]
	v_fma_f64 v[122:123], v[124:125], v[102:103], -v[116:117]
	v_fma_f64 v[108:109], v[108:109], v[118:119], -v[156:157]
	s_mov_b32 s14, 0x93053d00
	v_fma_f64 v[116:117], v[92:93], v[146:147], -v[144:145]
	v_mul_f64 v[146:147], v[54:55], v[90:91]
	v_fma_f64 v[124:125], v[60:61], v[96:97], v[104:105]
	v_fma_f64 v[104:105], v[128:129], v[140:141], v[148:149]
	v_mul_f64 v[96:97], v[62:63], v[96:97]
	v_mul_f64 v[140:141], v[130:131], v[140:141]
	v_mul_f64 v[54:55], v[54:55], v[88:89]
	v_mul_f64 v[148:149], v[70:71], v[114:115]
	s_mov_b32 s19, 0x3fddbe06
	v_fma_f64 v[130:131], v[52:53], v[88:89], v[146:147]
	v_mul_f64 v[146:147], v[58:59], v[86:87]
	v_mul_f64 v[58:59], v[58:59], v[84:85]
	v_fma_f64 v[98:99], v[60:61], v[98:99], -v[96:97]
	v_fma_f64 v[96:97], v[128:129], v[142:143], -v[140:141]
	v_mul_f64 v[140:141], v[50:51], v[74:75]
	v_mul_f64 v[142:143], v[78:79], v[138:139]
	v_fma_f64 v[60:61], v[80:81], v[132:133], v[150:151]
	v_mul_f64 v[50:51], v[50:51], v[72:73]
	v_fma_f64 v[88:89], v[56:57], v[84:85], v[146:147]
	v_mul_f64 v[146:147], v[82:83], v[132:133]
	v_mul_f64 v[78:79], v[78:79], v[136:137]
	v_fma_f64 v[84:85], v[52:53], v[90:91], -v[54:55]
	v_fma_f64 v[132:133], v[48:49], v[72:73], v[140:141]
	v_fma_f64 v[82:83], v[76:77], v[136:137], v[142:143]
	v_fma_f64 v[90:91], v[56:57], v[86:87], -v[58:59]
	v_fma_f64 v[62:63], v[68:69], v[112:113], v[148:149]
	v_add_f64 v[158:159], v[88:89], -v[60:61]
	v_fma_f64 v[72:73], v[80:81], v[134:135], -v[146:147]
	v_mul_f64 v[52:53], v[70:71], v[112:113]
	v_fma_f64 v[86:87], v[48:49], v[74:75], -v[50:51]
	v_fma_f64 v[70:71], v[76:77], v[138:139], -v[78:79]
	v_add_f64 v[156:157], v[132:133], -v[82:83]
	s_mov_b32 s18, 0x4267c47c
	s_mov_b32 s15, 0xbfef11f4
	v_mul_f64 v[48:49], v[158:159], s[16:17]
	v_add_f64 v[78:79], v[72:73], v[90:91]
	v_add_f64 v[128:129], v[130:131], -v[62:63]
	v_fma_f64 v[68:69], v[68:69], v[114:115], -v[52:53]
	v_add_f64 v[74:75], v[70:71], v[86:87]
	v_mul_f64 v[50:51], v[156:157], s[18:19]
	v_add_f64 v[136:137], v[90:91], -v[72:73]
	s_mov_b32 s24, 0x24c2f84
	s_mov_b32 s20, 0xe00740e9
	v_fma_f64 v[52:53], v[78:79], s[14:15], v[48:49]
	s_mov_b32 s25, 0xbfe5384d
	s_mov_b32 s21, 0x3fec55a7
	v_add_f64 v[144:145], v[124:125], -v[104:105]
	v_mul_f64 v[54:55], v[128:129], s[24:25]
	v_add_f64 v[76:77], v[84:85], v[68:69]
	v_fma_f64 v[56:57], v[74:75], s[20:21], v[50:51]
	v_add_f64 v[134:135], v[86:87], -v[70:71]
	v_add_f64 v[52:53], v[66:67], v[52:53]
	v_add_f64 v[114:115], v[60:61], v[88:89]
	v_mul_f64 v[58:59], v[136:137], s[16:17]
	s_mov_b32 s36, 0x42a4c3d2
	s_mov_b32 s22, 0xd0032e0c
	;; [unrolled: 1-line block ×4, first 2 shown]
	v_mul_f64 v[148:149], v[144:145], s[36:37]
	v_add_f64 v[80:81], v[98:99], v[96:97]
	v_fma_f64 v[140:141], v[76:77], s[22:23], v[54:55]
	v_add_f64 v[52:53], v[56:57], v[52:53]
	v_add_f64 v[138:139], v[84:85], -v[68:69]
	v_add_f64 v[112:113], v[82:83], v[132:133]
	v_mul_f64 v[56:57], v[134:135], s[18:19]
	v_fma_f64 v[142:143], v[114:115], s[14:15], -v[58:59]
	v_fma_f64 v[48:49], v[78:79], s[14:15], -v[48:49]
	s_mov_b32 s26, 0x1ea71119
	s_mov_b32 s27, 0x3fe22d96
	v_fma_f64 v[152:153], v[80:81], s[26:27], v[148:149]
	v_add_f64 v[52:53], v[140:141], v[52:53]
	v_add_f64 v[150:151], v[98:99], -v[96:97]
	v_add_f64 v[146:147], v[130:131], v[62:63]
	v_mul_f64 v[167:168], v[138:139], s[24:25]
	v_fma_f64 v[140:141], v[112:113], s[20:21], -v[56:57]
	v_add_f64 v[154:155], v[64:65], v[142:143]
	v_fma_f64 v[50:51], v[74:75], s[20:21], -v[50:51]
	v_add_f64 v[48:49], v[66:67], v[48:49]
	v_add_f64 v[126:127], v[120:121], -v[100:101]
	v_add_f64 v[52:53], v[152:153], v[52:53]
	v_add_f64 v[152:153], v[122:123], -v[116:117]
	v_add_f64 v[142:143], v[124:125], v[104:105]
	v_mul_f64 v[169:170], v[150:151], s[36:37]
	v_fma_f64 v[171:172], v[146:147], s[22:23], -v[167:168]
	v_add_f64 v[173:174], v[140:141], v[154:155]
	v_fma_f64 v[54:55], v[76:77], s[22:23], -v[54:55]
	v_add_f64 v[48:49], v[50:51], v[48:49]
	s_mov_b32 s12, 0x2ef20147
	s_mov_b32 s13, 0xbfedeba7
	v_add_f64 v[118:119], v[110:111], -v[106:107]
	v_mul_f64 v[162:163], v[126:127], s[12:13]
	v_add_f64 v[102:103], v[116:117], v[122:123]
	v_add_f64 v[154:155], v[108:109], -v[94:95]
	v_add_f64 v[140:141], v[100:101], v[120:121]
	v_mul_f64 v[175:176], v[152:153], s[12:13]
	v_fma_f64 v[50:51], v[142:143], s[26:27], -v[169:170]
	v_fma_f64 v[58:59], v[114:115], s[14:15], v[58:59]
	v_add_f64 v[171:172], v[171:172], v[173:174]
	v_fma_f64 v[173:174], v[80:81], s[26:27], -v[148:149]
	v_add_f64 v[48:49], v[54:55], v[48:49]
	s_mov_b32 s28, 0x66966769
	s_mov_b32 s4, 0xb2365da1
	;; [unrolled: 1-line block ×4, first 2 shown]
	v_add_f64 v[92:93], v[94:95], v[108:109]
	v_mul_f64 v[160:161], v[118:119], s[28:29]
	v_fma_f64 v[165:166], v[102:103], s[4:5], v[162:163]
	v_add_f64 v[148:149], v[106:107], v[110:111]
	v_mul_f64 v[177:178], v[154:155], s[28:29]
	v_fma_f64 v[54:55], v[140:141], s[4:5], -v[175:176]
	v_fma_f64 v[56:57], v[112:113], s[20:21], v[56:57]
	v_add_f64 v[58:59], v[64:65], v[58:59]
	v_add_f64 v[50:51], v[50:51], v[171:172]
	v_fma_f64 v[162:163], v[102:103], s[4:5], -v[162:163]
	v_add_f64 v[48:49], v[173:174], v[48:49]
	v_fma_f64 v[171:172], v[92:93], s[6:7], v[160:161]
	v_add_f64 v[52:53], v[165:166], v[52:53]
	v_fma_f64 v[165:166], v[148:149], s[6:7], -v[177:178]
	v_fma_f64 v[167:168], v[146:147], s[22:23], v[167:168]
	v_add_f64 v[56:57], v[56:57], v[58:59]
	v_add_f64 v[54:55], v[54:55], v[50:51]
	v_fma_f64 v[58:59], v[92:93], s[6:7], -v[160:161]
	v_add_f64 v[160:161], v[162:163], v[48:49]
	v_mul_f64 v[162:163], v[158:159], s[24:25]
	v_fma_f64 v[169:170], v[142:143], s[26:27], v[169:170]
	s_mov_b32 s31, 0xbfea55e2
	s_mov_b32 s30, s36
	v_add_f64 v[56:57], v[167:168], v[56:57]
	v_add_f64 v[48:49], v[165:166], v[54:55]
	;; [unrolled: 1-line block ×4, first 2 shown]
	v_mul_f64 v[58:59], v[156:157], s[28:29]
	v_fma_f64 v[160:161], v[78:79], s[22:23], v[162:163]
	v_fma_f64 v[162:163], v[78:79], s[22:23], -v[162:163]
	v_mul_f64 v[167:168], v[136:137], s[24:25]
	v_add_f64 v[56:57], v[169:170], v[56:57]
	v_mul_f64 v[169:170], v[128:129], s[30:31]
	s_mov_b32 s41, 0x3fcea1e5
	s_mov_b32 s40, s16
	v_fma_f64 v[171:172], v[74:75], s[6:7], v[58:59]
	v_add_f64 v[160:161], v[66:67], v[160:161]
	v_fma_f64 v[58:59], v[74:75], s[6:7], -v[58:59]
	v_add_f64 v[162:163], v[66:67], v[162:163]
	v_fma_f64 v[52:53], v[148:149], s[6:7], v[177:178]
	v_fma_f64 v[165:166], v[140:141], s[4:5], v[175:176]
	v_mul_f64 v[173:174], v[134:135], s[28:29]
	v_fma_f64 v[175:176], v[114:115], s[22:23], -v[167:168]
	v_mul_f64 v[177:178], v[144:145], s[40:41]
	v_fma_f64 v[179:180], v[76:77], s[26:27], v[169:170]
	v_add_f64 v[160:161], v[171:172], v[160:161]
	v_fma_f64 v[169:170], v[76:77], s[26:27], -v[169:170]
	v_add_f64 v[58:59], v[58:59], v[162:163]
	v_mul_f64 v[171:172], v[126:127], s[18:19]
	v_mul_f64 v[181:182], v[138:139], s[30:31]
	v_fma_f64 v[183:184], v[112:113], s[6:7], -v[173:174]
	v_add_f64 v[175:176], v[64:65], v[175:176]
	v_fma_f64 v[185:186], v[80:81], s[14:15], v[177:178]
	v_add_f64 v[160:161], v[179:180], v[160:161]
	v_add_f64 v[56:57], v[165:166], v[56:57]
	v_fma_f64 v[177:178], v[80:81], s[14:15], -v[177:178]
	v_add_f64 v[58:59], v[169:170], v[58:59]
	v_fma_f64 v[167:168], v[114:115], s[22:23], v[167:168]
	v_mul_f64 v[179:180], v[118:119], s[12:13]
	v_mul_f64 v[187:188], v[150:151], s[40:41]
	v_fma_f64 v[189:190], v[146:147], s[26:27], -v[181:182]
	v_add_f64 v[175:176], v[183:184], v[175:176]
	v_fma_f64 v[183:184], v[102:103], s[20:21], v[171:172]
	v_add_f64 v[160:161], v[185:186], v[160:161]
	v_add_f64 v[52:53], v[52:53], v[56:57]
	v_fma_f64 v[56:57], v[102:103], s[20:21], -v[171:172]
	v_add_f64 v[171:172], v[177:178], v[58:59]
	v_fma_f64 v[173:174], v[112:113], s[6:7], v[173:174]
	v_add_f64 v[167:168], v[64:65], v[167:168]
	v_mul_f64 v[162:163], v[152:153], s[18:19]
	v_fma_f64 v[165:166], v[142:143], s[14:15], -v[187:188]
	v_add_f64 v[175:176], v[189:190], v[175:176]
	v_fma_f64 v[185:186], v[92:93], s[4:5], v[179:180]
	v_add_f64 v[160:161], v[183:184], v[160:161]
	v_mul_f64 v[177:178], v[158:159], s[12:13]
	v_add_f64 v[171:172], v[56:57], v[171:172]
	v_fma_f64 v[56:57], v[146:147], s[26:27], v[181:182]
	v_add_f64 v[167:168], v[173:174], v[167:168]
	v_mul_f64 v[173:174], v[136:137], s[12:13]
	s_mov_b32 s39, 0x3fe5384d
	s_mov_b32 s38, s24
	v_fma_f64 v[183:184], v[140:141], s[20:21], -v[162:163]
	v_add_f64 v[165:166], v[165:166], v[175:176]
	v_add_f64 v[58:59], v[185:186], v[160:161]
	v_fma_f64 v[175:176], v[92:93], s[4:5], -v[179:180]
	v_mul_f64 v[179:180], v[156:157], s[38:39]
	v_fma_f64 v[181:182], v[78:79], s[4:5], v[177:178]
	v_add_f64 v[56:57], v[56:57], v[167:168]
	v_mul_f64 v[185:186], v[134:135], s[38:39]
	v_fma_f64 v[167:168], v[114:115], s[4:5], -v[173:174]
	v_fma_f64 v[177:178], v[78:79], s[4:5], -v[177:178]
	v_add_f64 v[165:166], v[183:184], v[165:166]
	v_fma_f64 v[183:184], v[142:143], s[14:15], v[187:188]
	v_mul_f64 v[187:188], v[128:129], s[18:19]
	v_fma_f64 v[189:190], v[74:75], s[22:23], v[179:180]
	v_add_f64 v[181:182], v[66:67], v[181:182]
	v_mul_f64 v[191:192], v[138:139], s[18:19]
	v_fma_f64 v[193:194], v[112:113], s[22:23], -v[185:186]
	v_add_f64 v[167:168], v[64:65], v[167:168]
	v_fma_f64 v[179:180], v[74:75], s[22:23], -v[179:180]
	v_add_f64 v[177:178], v[66:67], v[177:178]
	s_mov_b32 s35, 0xbfefc445
	s_mov_b32 s34, s28
	v_mul_f64 v[195:196], v[144:145], s[34:35]
	v_fma_f64 v[197:198], v[76:77], s[20:21], v[187:188]
	v_add_f64 v[181:182], v[189:190], v[181:182]
	v_add_f64 v[56:57], v[183:184], v[56:57]
	v_mul_f64 v[183:184], v[150:151], s[34:35]
	v_fma_f64 v[189:190], v[146:147], s[20:21], -v[191:192]
	v_add_f64 v[167:168], v[193:194], v[167:168]
	v_fma_f64 v[187:188], v[76:77], s[20:21], -v[187:188]
	v_add_f64 v[177:178], v[179:180], v[177:178]
	v_mul_f64 v[169:170], v[154:155], s[12:13]
	v_fma_f64 v[162:163], v[140:141], s[20:21], v[162:163]
	v_mul_f64 v[193:194], v[126:127], s[40:41]
	v_fma_f64 v[199:200], v[80:81], s[6:7], v[195:196]
	v_add_f64 v[181:182], v[197:198], v[181:182]
	v_mul_f64 v[197:198], v[152:153], s[40:41]
	v_fma_f64 v[201:202], v[142:143], s[6:7], -v[183:184]
	v_add_f64 v[167:168], v[189:190], v[167:168]
	v_fma_f64 v[195:196], v[80:81], s[6:7], -v[195:196]
	v_add_f64 v[177:178], v[187:188], v[177:178]
	v_fma_f64 v[160:161], v[148:149], s[4:5], -v[169:170]
	v_mul_f64 v[189:190], v[118:119], s[36:37]
	v_fma_f64 v[203:204], v[102:103], s[14:15], v[193:194]
	v_add_f64 v[181:182], v[199:200], v[181:182]
	v_mul_f64 v[179:180], v[154:155], s[36:37]
	v_fma_f64 v[199:200], v[140:141], s[14:15], -v[197:198]
	v_add_f64 v[167:168], v[201:202], v[167:168]
	v_fma_f64 v[169:170], v[148:149], s[4:5], v[169:170]
	v_add_f64 v[201:202], v[162:163], v[56:57]
	v_add_f64 v[162:163], v[175:176], v[171:172]
	v_fma_f64 v[171:172], v[114:115], s[4:5], v[173:174]
	v_fma_f64 v[173:174], v[102:103], s[14:15], -v[193:194]
	v_add_f64 v[175:176], v[195:196], v[177:178]
	v_fma_f64 v[205:206], v[92:93], s[26:27], v[189:190]
	v_add_f64 v[181:182], v[203:204], v[181:182]
	v_fma_f64 v[187:188], v[148:149], s[26:27], -v[179:180]
	v_add_f64 v[199:200], v[199:200], v[167:168]
	v_add_f64 v[56:57], v[160:161], v[165:166]
	;; [unrolled: 1-line block ×3, first 2 shown]
	v_fma_f64 v[169:170], v[112:113], s[22:23], v[185:186]
	v_mul_f64 v[177:178], v[158:159], s[34:35]
	v_add_f64 v[171:172], v[64:65], v[171:172]
	v_add_f64 v[173:174], v[173:174], v[175:176]
	v_fma_f64 v[175:176], v[142:143], s[6:7], v[183:184]
	v_mul_f64 v[183:184], v[136:137], s[34:35]
	v_add_f64 v[167:168], v[205:206], v[181:182]
	v_add_f64 v[165:166], v[187:188], v[199:200]
	v_fma_f64 v[181:182], v[92:93], s[26:27], -v[189:190]
	v_fma_f64 v[185:186], v[146:147], s[20:21], v[191:192]
	v_mul_f64 v[187:188], v[156:157], s[16:17]
	v_fma_f64 v[189:190], v[78:79], s[6:7], v[177:178]
	v_add_f64 v[169:170], v[169:170], v[171:172]
	v_mul_f64 v[191:192], v[134:135], s[16:17]
	v_fma_f64 v[171:172], v[114:115], s[6:7], -v[183:184]
	s_mov_b32 s37, 0x3fedeba7
	s_mov_b32 s36, s12
	v_mul_f64 v[193:194], v[128:129], s[36:37]
	v_fma_f64 v[195:196], v[74:75], s[14:15], v[187:188]
	v_add_f64 v[189:190], v[66:67], v[189:190]
	v_add_f64 v[169:170], v[185:186], v[169:170]
	v_fma_f64 v[185:186], v[140:141], s[14:15], v[197:198]
	v_mul_f64 v[197:198], v[138:139], s[36:37]
	v_fma_f64 v[199:200], v[112:113], s[14:15], -v[191:192]
	v_add_f64 v[171:172], v[64:65], v[171:172]
	v_mul_f64 v[201:202], v[144:145], s[18:19]
	v_fma_f64 v[203:204], v[76:77], s[4:5], v[193:194]
	v_add_f64 v[189:190], v[195:196], v[189:190]
	v_add_f64 v[169:170], v[175:176], v[169:170]
	v_mul_f64 v[195:196], v[150:151], s[18:19]
	v_fma_f64 v[175:176], v[146:147], s[4:5], -v[197:198]
	v_fma_f64 v[177:178], v[78:79], s[6:7], -v[177:178]
	v_add_f64 v[171:172], v[199:200], v[171:172]
	v_mul_f64 v[199:200], v[126:127], s[30:31]
	v_fma_f64 v[205:206], v[80:81], s[20:21], v[201:202]
	v_add_f64 v[189:190], v[203:204], v[189:190]
	v_mul_f64 v[203:204], v[152:153], s[30:31]
	v_fma_f64 v[207:208], v[142:143], s[20:21], -v[195:196]
	v_fma_f64 v[187:188], v[74:75], s[14:15], -v[187:188]
	v_add_f64 v[177:178], v[66:67], v[177:178]
	v_add_f64 v[171:172], v[175:176], v[171:172]
	v_mul_f64 v[209:210], v[118:119], s[24:25]
	v_fma_f64 v[175:176], v[102:103], s[26:27], v[199:200]
	v_add_f64 v[189:190], v[205:206], v[189:190]
	v_mul_f64 v[205:206], v[154:155], s[24:25]
	v_fma_f64 v[211:212], v[140:141], s[26:27], -v[203:204]
	v_fma_f64 v[193:194], v[76:77], s[4:5], -v[193:194]
	v_add_f64 v[177:178], v[187:188], v[177:178]
	v_add_f64 v[171:172], v[207:208], v[171:172]
	v_fma_f64 v[179:180], v[148:149], s[26:27], v[179:180]
	v_add_f64 v[169:170], v[185:186], v[169:170]
	v_fma_f64 v[185:186], v[92:93], s[22:23], v[209:210]
	v_add_f64 v[175:176], v[175:176], v[189:190]
	v_fma_f64 v[187:188], v[148:149], s[22:23], -v[205:206]
	v_fma_f64 v[189:190], v[80:81], s[20:21], -v[201:202]
	v_add_f64 v[177:178], v[193:194], v[177:178]
	v_add_f64 v[193:194], v[211:212], v[171:172]
	;; [unrolled: 1-line block ×4, first 2 shown]
	v_fma_f64 v[179:180], v[114:115], s[6:7], v[183:184]
	v_mul_f64 v[183:184], v[158:159], s[30:31]
	v_add_f64 v[175:176], v[185:186], v[175:176]
	v_fma_f64 v[181:182], v[102:103], s[26:27], -v[199:200]
	v_add_f64 v[177:178], v[189:190], v[177:178]
	v_add_f64 v[173:174], v[187:188], v[193:194]
	v_fma_f64 v[185:186], v[112:113], s[14:15], v[191:192]
	v_mul_f64 v[187:188], v[136:137], s[30:31]
	v_add_f64 v[179:180], v[64:65], v[179:180]
	v_mul_f64 v[191:192], v[156:157], s[12:13]
	v_fma_f64 v[193:194], v[78:79], s[26:27], v[183:184]
	v_add_f64 v[90:91], v[66:67], v[90:91]
	v_add_f64 v[88:89], v[64:65], v[88:89]
	;; [unrolled: 1-line block ×3, first 2 shown]
	v_fma_f64 v[181:182], v[146:147], s[4:5], v[197:198]
	v_mul_f64 v[197:198], v[134:135], s[12:13]
	v_fma_f64 v[199:200], v[114:115], s[26:27], -v[187:188]
	v_add_f64 v[179:180], v[185:186], v[179:180]
	v_mul_f64 v[185:186], v[128:129], s[16:17]
	v_fma_f64 v[201:202], v[74:75], s[4:5], v[191:192]
	v_add_f64 v[193:194], v[66:67], v[193:194]
	v_add_f64 v[86:87], v[86:87], v[90:91]
	;; [unrolled: 1-line block ×3, first 2 shown]
	v_fma_f64 v[189:190], v[92:93], s[22:23], -v[209:210]
	v_mul_f64 v[207:208], v[138:139], s[16:17]
	v_fma_f64 v[209:210], v[112:113], s[4:5], -v[197:198]
	v_add_f64 v[199:200], v[64:65], v[199:200]
	v_add_f64 v[179:180], v[181:182], v[179:180]
	v_mul_f64 v[181:182], v[144:145], s[38:39]
	v_fma_f64 v[211:212], v[76:77], s[14:15], v[185:186]
	v_add_f64 v[193:194], v[201:202], v[193:194]
	v_add_f64 v[84:85], v[84:85], v[86:87]
	;; [unrolled: 1-line block ×3, first 2 shown]
	v_fma_f64 v[183:184], v[78:79], s[26:27], -v[183:184]
	v_fma_f64 v[213:214], v[146:147], s[14:15], -v[207:208]
	v_add_f64 v[199:200], v[209:210], v[199:200]
	v_fma_f64 v[209:210], v[80:81], s[22:23], v[181:182]
	v_fma_f64 v[191:192], v[74:75], s[4:5], -v[191:192]
	v_add_f64 v[193:194], v[211:212], v[193:194]
	v_add_f64 v[98:99], v[98:99], v[84:85]
	;; [unrolled: 1-line block ×4, first 2 shown]
	v_fma_f64 v[187:188], v[114:115], s[26:27], v[187:188]
	v_add_f64 v[199:200], v[213:214], v[199:200]
	v_mul_f64 v[213:214], v[118:119], s[18:19]
	v_fma_f64 v[195:196], v[142:143], s[20:21], v[195:196]
	v_add_f64 v[193:194], v[209:210], v[193:194]
	v_mul_f64 v[209:210], v[154:155], s[18:19]
	s_mov_b32 s19, 0xbfddbe06
	v_mul_f64 v[158:159], v[158:159], s[18:19]
	v_add_f64 v[98:99], v[122:123], v[98:99]
	v_add_f64 v[86:87], v[120:121], v[86:87]
	v_fma_f64 v[185:186], v[76:77], s[14:15], -v[185:186]
	v_add_f64 v[183:184], v[191:192], v[183:184]
	v_fma_f64 v[191:192], v[112:113], s[4:5], v[197:198]
	v_add_f64 v[187:188], v[64:65], v[187:188]
	v_mul_f64 v[120:121], v[136:137], s[18:19]
	v_mul_f64 v[156:157], v[156:157], s[30:31]
	v_fma_f64 v[197:198], v[78:79], s[20:21], v[158:159]
	v_fma_f64 v[78:79], v[78:79], s[20:21], -v[158:159]
	v_add_f64 v[98:99], v[108:109], v[98:99]
	v_add_f64 v[86:87], v[110:111], v[86:87]
	v_fma_f64 v[201:202], v[140:141], s[26:27], v[203:204]
	v_mul_f64 v[203:204], v[150:151], s[38:39]
	v_add_f64 v[179:180], v[195:196], v[179:180]
	v_mul_f64 v[195:196], v[126:127], s[28:29]
	v_fma_f64 v[181:182], v[80:81], s[22:23], -v[181:182]
	v_add_f64 v[183:184], v[185:186], v[183:184]
	v_fma_f64 v[185:186], v[146:147], s[14:15], v[207:208]
	v_add_f64 v[187:188], v[191:192], v[187:188]
	v_mul_f64 v[108:109], v[134:135], s[30:31]
	v_fma_f64 v[110:111], v[114:115], s[20:21], v[120:121]
	v_mul_f64 v[128:129], v[128:129], s[34:35]
	v_fma_f64 v[191:192], v[74:75], s[26:27], v[156:157]
	v_add_f64 v[90:91], v[66:67], v[197:198]
	v_fma_f64 v[74:75], v[74:75], s[26:27], -v[156:157]
	v_add_f64 v[66:67], v[66:67], v[78:79]
	v_add_f64 v[78:79], v[94:95], v[98:99]
	;; [unrolled: 1-line block ×3, first 2 shown]
	v_mul_f64 v[211:212], v[152:153], s[28:29]
	v_fma_f64 v[217:218], v[102:103], s[6:7], v[195:196]
	v_fma_f64 v[195:196], v[102:103], s[6:7], -v[195:196]
	v_add_f64 v[132:133], v[181:182], v[183:184]
	v_fma_f64 v[181:182], v[142:143], s[22:23], v[203:204]
	v_add_f64 v[183:184], v[185:186], v[187:188]
	v_mul_f64 v[134:135], v[138:139], s[34:35]
	v_fma_f64 v[114:115], v[114:115], s[20:21], -v[120:121]
	v_fma_f64 v[94:95], v[112:113], s[26:27], v[108:109]
	v_add_f64 v[98:99], v[64:65], v[110:111]
	v_fma_f64 v[185:186], v[76:77], s[6:7], v[128:129]
	v_fma_f64 v[76:77], v[76:77], s[6:7], -v[128:129]
	v_add_f64 v[66:67], v[74:75], v[66:67]
	v_add_f64 v[74:75], v[116:117], v[78:79]
	;; [unrolled: 1-line block ×3, first 2 shown]
	v_mul_f64 v[144:145], v[144:145], s[12:13]
	v_add_f64 v[88:89], v[191:192], v[90:91]
	v_add_f64 v[90:91], v[195:196], v[132:133]
	v_fma_f64 v[130:131], v[140:141], s[6:7], v[211:212]
	v_add_f64 v[132:133], v[181:182], v[183:184]
	v_mul_f64 v[136:137], v[150:151], s[12:13]
	v_fma_f64 v[106:107], v[112:113], s[26:27], -v[108:109]
	v_add_f64 v[64:65], v[64:65], v[114:115]
	v_fma_f64 v[86:87], v[146:147], s[6:7], v[134:135]
	v_add_f64 v[94:95], v[94:95], v[98:99]
	v_add_f64 v[66:67], v[76:77], v[66:67]
	;; [unrolled: 1-line block ×4, first 2 shown]
	v_mul_f64 v[126:127], v[126:127], s[24:25]
	v_fma_f64 v[181:182], v[80:81], s[4:5], v[144:145]
	v_add_f64 v[124:125], v[130:131], v[132:133]
	v_mul_f64 v[132:133], v[152:153], s[24:25]
	v_fma_f64 v[98:99], v[146:147], s[6:7], -v[134:135]
	v_add_f64 v[64:65], v[106:107], v[64:65]
	v_fma_f64 v[80:81], v[80:81], s[4:5], -v[144:145]
	v_fma_f64 v[78:79], v[142:143], s[4:5], v[136:137]
	v_add_f64 v[86:87], v[86:87], v[94:95]
	v_fma_f64 v[205:206], v[148:149], s[22:23], v[205:206]
	v_add_f64 v[201:202], v[201:202], v[179:180]
	v_add_f64 v[68:69], v[68:69], v[74:75]
	;; [unrolled: 1-line block ×3, first 2 shown]
	v_fma_f64 v[215:216], v[142:143], s[22:23], -v[203:204]
	v_add_f64 v[88:89], v[185:186], v[88:89]
	v_mul_f64 v[118:119], v[118:119], s[16:17]
	v_mul_f64 v[122:123], v[154:155], s[16:17]
	v_fma_f64 v[94:95], v[142:143], s[4:5], -v[136:137]
	v_add_f64 v[64:65], v[98:99], v[64:65]
	v_fma_f64 v[96:97], v[102:103], s[22:23], -v[126:127]
	v_add_f64 v[66:67], v[80:81], v[66:67]
	v_fma_f64 v[74:75], v[140:141], s[22:23], v[132:133]
	v_add_f64 v[76:77], v[78:79], v[86:87]
	v_add_f64 v[179:180], v[189:190], v[177:178]
	v_add_f64 v[177:178], v[205:206], v[201:202]
	v_fma_f64 v[205:206], v[92:93], s[20:21], -v[213:214]
	v_add_f64 v[68:69], v[70:71], v[68:69]
	v_add_f64 v[70:71], v[82:83], v[62:63]
	v_fma_f64 v[219:220], v[140:141], s[6:7], -v[211:212]
	v_add_f64 v[199:200], v[215:216], v[199:200]
	v_fma_f64 v[130:131], v[102:103], s[22:23], v[126:127]
	v_add_f64 v[88:89], v[181:182], v[88:89]
	v_fma_f64 v[78:79], v[140:141], s[22:23], -v[132:133]
	v_add_f64 v[64:65], v[94:95], v[64:65]
	v_fma_f64 v[80:81], v[92:93], s[14:15], -v[118:119]
	v_add_f64 v[66:67], v[96:97], v[66:67]
	v_fma_f64 v[82:83], v[148:149], s[14:15], v[122:123]
	v_add_f64 v[74:75], v[74:75], v[76:77]
	v_add_f64 v[84:85], v[205:206], v[90:91]
	v_fma_f64 v[90:91], v[148:149], s[20:21], v[209:210]
	v_add_f64 v[62:63], v[72:73], v[68:69]
	;; [unrolled: 3-line block ×3, first 2 shown]
	v_fma_f64 v[201:202], v[148:149], s[20:21], -v[209:210]
	v_add_f64 v[199:200], v[219:220], v[199:200]
	v_fma_f64 v[76:77], v[92:93], s[14:15], v[118:119]
	v_add_f64 v[86:87], v[130:131], v[88:89]
	v_fma_f64 v[88:89], v[148:149], s[14:15], -v[122:123]
	v_add_f64 v[78:79], v[78:79], v[64:65]
	v_add_f64 v[66:67], v[80:81], v[66:67]
	v_add_f64 v[64:65], v[82:83], v[74:75]
	v_add_f64 v[82:83], v[90:91], v[124:125]
	ds_write_b128 v245, v[60:63]
	v_lshl_add_u32 v60, v247, 4, v246
	v_add_f64 v[70:71], v[189:190], v[193:194]
	v_add_f64 v[68:69], v[201:202], v[199:200]
	;; [unrolled: 1-line block ×4, first 2 shown]
	ds_write_b128 v60, v[64:67] offset:192
	ds_write_b128 v60, v[82:85] offset:384
	;; [unrolled: 1-line block ×12, first 2 shown]
.LBB0_9:
	s_or_b64 exec, exec, s[0:1]
	s_waitcnt lgkmcnt(0)
	s_barrier
	ds_read_b128 v[48:51], v245
	ds_read_b128 v[52:55], v245 offset:208
	v_mad_u64_u32 v[58:59], s[0:1], s10, v164, 0
	v_mad_u64_u32 v[60:61], s[0:1], s8, v247, 0
	s_waitcnt lgkmcnt(1)
	v_mul_f64 v[56:57], v[46:47], v[50:51]
	v_mul_f64 v[46:47], v[46:47], v[48:49]
	v_mov_b32_e32 v66, s3
	s_mul_hi_u32 s3, s8, 0x340
	v_fma_f64 v[48:49], v[44:45], v[48:49], v[56:57]
	v_mad_u64_u32 v[56:57], s[0:1], s11, v164, v[59:60]
	s_mov_b32 s0, 0x1a41a41a
	v_fma_f64 v[46:47], v[44:45], v[50:51], -v[46:47]
	s_mov_b32 s1, 0x3f7a41a4
	v_mov_b32_e32 v50, v61
	v_mov_b32_e32 v59, v56
	v_mul_f64 v[44:45], v[48:49], s[0:1]
	v_mad_u64_u32 v[56:57], s[4:5], s9, v247, v[50:51]
	ds_read_b128 v[48:51], v245 offset:832
	v_lshlrev_b64 v[62:63], 4, v[58:59]
	v_mov_b32_e32 v61, v56
	ds_read_b128 v[56:59], v245 offset:1040
	v_mul_f64 v[46:47], v[46:47], s[0:1]
	s_waitcnt lgkmcnt(1)
	v_mul_f64 v[64:65], v[42:43], v[50:51]
	v_mul_f64 v[42:43], v[42:43], v[48:49]
	v_add_co_u32_e32 v67, vcc, s2, v62
	v_lshlrev_b64 v[60:61], 4, v[60:61]
	v_addc_co_u32_e32 v66, vcc, v66, v63, vcc
	v_add_co_u32_e32 v60, vcc, v67, v60
	v_fma_f64 v[48:49], v[40:41], v[48:49], v[64:65]
	v_addc_co_u32_e32 v61, vcc, v66, v61, vcc
	global_store_dwordx4 v[60:61], v[44:47], off
	v_fma_f64 v[62:63], v[40:41], v[50:51], -v[42:43]
	ds_read_b128 v[40:43], v245 offset:1664
	s_mul_i32 s2, s9, 0x340
	s_add_i32 s2, s3, s2
	v_mul_f64 v[44:45], v[48:49], s[0:1]
	ds_read_b128 v[48:51], v245 offset:1872
	buffer_load_dword v0, off, s[48:51], 0 offset:80 ; 4-byte Folded Reload
	buffer_load_dword v1, off, s[48:51], 0 offset:84 ; 4-byte Folded Reload
	;; [unrolled: 1-line block ×4, first 2 shown]
	s_waitcnt lgkmcnt(1)
	v_mul_f64 v[64:65], v[38:39], v[42:43]
	v_mul_f64 v[38:39], v[38:39], v[40:41]
	;; [unrolled: 1-line block ×3, first 2 shown]
	s_mul_i32 s3, s8, 0x340
	v_mov_b32_e32 v62, s2
	v_add_co_u32_e32 v60, vcc, s3, v60
	v_addc_co_u32_e32 v61, vcc, v61, v62, vcc
	v_fma_f64 v[40:41], v[36:37], v[40:41], v[64:65]
	v_fma_f64 v[38:39], v[36:37], v[42:43], -v[38:39]
	v_mov_b32_e32 v20, s2
	global_store_dwordx4 v[60:61], v[44:47], off
	s_mul_hi_u32 s5, s8, 0xfffffa50
	s_mul_i32 s4, s9, 0xfffffa50
	s_sub_i32 s5, s5, s8
	s_add_i32 s5, s5, s4
	v_mul_f64 v[36:37], v[40:41], s[0:1]
	v_mul_f64 v[38:39], v[38:39], s[0:1]
	s_mul_i32 s4, s8, 0xfffffa50
	v_mov_b32_e32 v44, s2
	s_waitcnt vmcnt(1)
	v_mul_f64 v[42:43], v[2:3], v[54:55]
	v_mul_f64 v[22:23], v[2:3], v[52:53]
	v_fma_f64 v[40:41], v[0:1], v[52:53], v[42:43]
	v_add_co_u32_e32 v42, vcc, s3, v60
	v_fma_f64 v[22:23], v[0:1], v[54:55], -v[22:23]
	v_addc_co_u32_e32 v43, vcc, v61, v20, vcc
	global_store_dwordx4 v[42:43], v[36:39], off
	v_mul_f64 v[20:21], v[40:41], s[0:1]
	v_mul_f64 v[36:37], v[30:31], v[58:59]
	;; [unrolled: 1-line block ×4, first 2 shown]
	s_waitcnt lgkmcnt(0)
	v_mul_f64 v[38:39], v[34:35], v[50:51]
	v_mul_f64 v[34:35], v[34:35], v[48:49]
	v_mov_b32_e32 v41, s5
	v_add_co_u32_e32 v40, vcc, s4, v42
	v_fma_f64 v[36:37], v[28:29], v[56:57], v[36:37]
	v_fma_f64 v[28:29], v[28:29], v[58:59], -v[30:31]
	v_addc_co_u32_e32 v41, vcc, v43, v41, vcc
	global_store_dwordx4 v[40:41], v[20:23], off
	v_add_co_u32_e32 v40, vcc, s3, v40
	v_addc_co_u32_e32 v41, vcc, v41, v44, vcc
	v_mul_f64 v[20:21], v[36:37], s[0:1]
	v_mul_f64 v[22:23], v[28:29], s[0:1]
	ds_read_b128 v[28:31], v245 offset:416
	v_fma_f64 v[36:37], v[32:33], v[48:49], v[38:39]
	v_fma_f64 v[38:39], v[32:33], v[50:51], -v[34:35]
	ds_read_b128 v[32:35], v245 offset:624
	buffer_load_dword v0, off, s[48:51], 0 offset:32 ; 4-byte Folded Reload
	buffer_load_dword v1, off, s[48:51], 0 offset:36 ; 4-byte Folded Reload
	;; [unrolled: 1-line block ×4, first 2 shown]
	s_waitcnt vmcnt(0) lgkmcnt(1)
	v_mul_f64 v[42:43], v[2:3], v[30:31]
	v_mul_f64 v[10:11], v[2:3], v[28:29]
	global_store_dwordx4 v[40:41], v[20:23], off
	v_add_co_u32_e32 v40, vcc, s3, v40
	v_mul_f64 v[20:21], v[36:37], s[0:1]
	v_mul_f64 v[22:23], v[38:39], s[0:1]
	ds_read_b128 v[36:39], v245 offset:1248
	v_fma_f64 v[28:29], v[0:1], v[28:29], v[42:43]
	v_fma_f64 v[30:31], v[0:1], v[30:31], -v[10:11]
	ds_read_b128 v[8:11], v245 offset:1456
	buffer_load_dword v0, off, s[48:51], 0 offset:16 ; 4-byte Folded Reload
	buffer_load_dword v1, off, s[48:51], 0 offset:20 ; 4-byte Folded Reload
	;; [unrolled: 1-line block ×4, first 2 shown]
	v_addc_co_u32_e32 v41, vcc, v41, v44, vcc
	global_store_dwordx4 v[40:41], v[20:23], off
	v_mov_b32_e32 v44, s5
	v_mul_f64 v[20:21], v[28:29], s[0:1]
	v_mul_f64 v[22:23], v[30:31], s[0:1]
	ds_read_b128 v[28:31], v245 offset:2080
	v_add_co_u32_e32 v40, vcc, s4, v40
	v_addc_co_u32_e32 v41, vcc, v41, v44, vcc
	s_waitcnt vmcnt(1) lgkmcnt(2)
	v_mul_f64 v[42:43], v[2:3], v[38:39]
	v_mul_f64 v[6:7], v[2:3], v[36:37]
	v_fma_f64 v[36:37], v[0:1], v[36:37], v[42:43]
	v_fma_f64 v[38:39], v[0:1], v[38:39], -v[6:7]
	ds_read_b128 v[4:7], v245 offset:2288
	buffer_load_dword v0, off, s[48:51], 0  ; 4-byte Folded Reload
	buffer_load_dword v1, off, s[48:51], 0 offset:4 ; 4-byte Folded Reload
	buffer_load_dword v2, off, s[48:51], 0 offset:8 ; 4-byte Folded Reload
	;; [unrolled: 1-line block ×3, first 2 shown]
	s_waitcnt vmcnt(0) lgkmcnt(1)
	v_mul_f64 v[42:43], v[2:3], v[30:31]
	global_store_dwordx4 v[40:41], v[20:23], off
	buffer_load_dword v12, off, s[48:51], 0 offset:48 ; 4-byte Folded Reload
	buffer_load_dword v13, off, s[48:51], 0 offset:52 ; 4-byte Folded Reload
	;; [unrolled: 1-line block ×4, first 2 shown]
	v_mul_f64 v[20:21], v[36:37], s[0:1]
	v_mul_f64 v[22:23], v[38:39], s[0:1]
	v_mov_b32_e32 v37, s2
	v_add_co_u32_e32 v36, vcc, s3, v40
	v_addc_co_u32_e32 v37, vcc, v41, v37, vcc
	v_mul_f64 v[2:3], v[2:3], v[28:29]
	v_fma_f64 v[28:29], v[0:1], v[28:29], v[42:43]
	global_store_dwordx4 v[36:37], v[20:23], off
	buffer_load_dword v16, off, s[48:51], 0 offset:64 ; 4-byte Folded Reload
	buffer_load_dword v17, off, s[48:51], 0 offset:68 ; 4-byte Folded Reload
	;; [unrolled: 1-line block ×8, first 2 shown]
	v_mov_b32_e32 v22, s2
	v_fma_f64 v[2:3], v[0:1], v[30:31], -v[2:3]
	v_mul_f64 v[0:1], v[28:29], s[0:1]
	v_mul_f64 v[2:3], v[2:3], s[0:1]
	s_waitcnt vmcnt(9)
	v_mul_f64 v[30:31], v[14:15], v[34:35]
	v_mul_f64 v[14:15], v[14:15], v[32:33]
	v_fma_f64 v[20:21], v[12:13], v[32:33], v[30:31]
	v_fma_f64 v[12:13], v[12:13], v[34:35], -v[14:15]
	v_add_co_u32_e32 v14, vcc, s3, v36
	v_addc_co_u32_e32 v15, vcc, v37, v22, vcc
	s_waitcnt vmcnt(4)
	v_mul_f64 v[22:23], v[18:19], v[10:11]
	v_mul_f64 v[18:19], v[18:19], v[8:9]
	s_waitcnt vmcnt(0) lgkmcnt(0)
	v_mul_f64 v[28:29], v[26:27], v[6:7]
	v_mul_f64 v[26:27], v[26:27], v[4:5]
	global_store_dwordx4 v[14:15], v[0:3], off
	v_fma_f64 v[8:9], v[16:17], v[8:9], v[22:23]
	v_mul_f64 v[0:1], v[20:21], s[0:1]
	v_mul_f64 v[2:3], v[12:13], s[0:1]
	v_fma_f64 v[10:11], v[16:17], v[10:11], -v[18:19]
	v_fma_f64 v[4:5], v[24:25], v[4:5], v[28:29]
	v_fma_f64 v[6:7], v[24:25], v[6:7], -v[26:27]
	v_mov_b32_e32 v13, s5
	v_add_co_u32_e32 v12, vcc, s4, v14
	v_addc_co_u32_e32 v13, vcc, v15, v13, vcc
	global_store_dwordx4 v[12:13], v[0:3], off
	v_mul_f64 v[4:5], v[4:5], s[0:1]
	v_mul_f64 v[0:1], v[8:9], s[0:1]
	;; [unrolled: 1-line block ×4, first 2 shown]
	v_mov_b32_e32 v9, s2
	v_add_co_u32_e32 v8, vcc, s3, v12
	v_addc_co_u32_e32 v9, vcc, v13, v9, vcc
	global_store_dwordx4 v[8:9], v[0:3], off
	s_nop 0
	v_mov_b32_e32 v1, s2
	v_add_co_u32_e32 v0, vcc, s3, v8
	v_addc_co_u32_e32 v1, vcc, v9, v1, vcc
	global_store_dwordx4 v[0:1], v[4:7], off
.LBB0_10:
	s_endpgm
	.section	.rodata,"a",@progbits
	.p2align	6, 0x0
	.amdhsa_kernel bluestein_single_fwd_len156_dim1_dp_op_CI_CI
		.amdhsa_group_segment_fixed_size 22464
		.amdhsa_private_segment_fixed_size 400
		.amdhsa_kernarg_size 104
		.amdhsa_user_sgpr_count 6
		.amdhsa_user_sgpr_private_segment_buffer 1
		.amdhsa_user_sgpr_dispatch_ptr 0
		.amdhsa_user_sgpr_queue_ptr 0
		.amdhsa_user_sgpr_kernarg_segment_ptr 1
		.amdhsa_user_sgpr_dispatch_id 0
		.amdhsa_user_sgpr_flat_scratch_init 0
		.amdhsa_user_sgpr_private_segment_size 0
		.amdhsa_uses_dynamic_stack 0
		.amdhsa_system_sgpr_private_segment_wavefront_offset 1
		.amdhsa_system_sgpr_workgroup_id_x 1
		.amdhsa_system_sgpr_workgroup_id_y 0
		.amdhsa_system_sgpr_workgroup_id_z 0
		.amdhsa_system_sgpr_workgroup_info 0
		.amdhsa_system_vgpr_workitem_id 0
		.amdhsa_next_free_vgpr 256
		.amdhsa_next_free_sgpr 52
		.amdhsa_reserve_vcc 1
		.amdhsa_reserve_flat_scratch 0
		.amdhsa_float_round_mode_32 0
		.amdhsa_float_round_mode_16_64 0
		.amdhsa_float_denorm_mode_32 3
		.amdhsa_float_denorm_mode_16_64 3
		.amdhsa_dx10_clamp 1
		.amdhsa_ieee_mode 1
		.amdhsa_fp16_overflow 0
		.amdhsa_exception_fp_ieee_invalid_op 0
		.amdhsa_exception_fp_denorm_src 0
		.amdhsa_exception_fp_ieee_div_zero 0
		.amdhsa_exception_fp_ieee_overflow 0
		.amdhsa_exception_fp_ieee_underflow 0
		.amdhsa_exception_fp_ieee_inexact 0
		.amdhsa_exception_int_div_zero 0
	.end_amdhsa_kernel
	.text
.Lfunc_end0:
	.size	bluestein_single_fwd_len156_dim1_dp_op_CI_CI, .Lfunc_end0-bluestein_single_fwd_len156_dim1_dp_op_CI_CI
                                        ; -- End function
	.section	.AMDGPU.csdata,"",@progbits
; Kernel info:
; codeLenInByte = 17032
; NumSgprs: 56
; NumVgprs: 256
; ScratchSize: 400
; MemoryBound: 0
; FloatMode: 240
; IeeeMode: 1
; LDSByteSize: 22464 bytes/workgroup (compile time only)
; SGPRBlocks: 6
; VGPRBlocks: 63
; NumSGPRsForWavesPerEU: 56
; NumVGPRsForWavesPerEU: 256
; Occupancy: 1
; WaveLimiterHint : 1
; COMPUTE_PGM_RSRC2:SCRATCH_EN: 1
; COMPUTE_PGM_RSRC2:USER_SGPR: 6
; COMPUTE_PGM_RSRC2:TRAP_HANDLER: 0
; COMPUTE_PGM_RSRC2:TGID_X_EN: 1
; COMPUTE_PGM_RSRC2:TGID_Y_EN: 0
; COMPUTE_PGM_RSRC2:TGID_Z_EN: 0
; COMPUTE_PGM_RSRC2:TIDIG_COMP_CNT: 0
	.type	__hip_cuid_e0ee2df807799b06,@object ; @__hip_cuid_e0ee2df807799b06
	.section	.bss,"aw",@nobits
	.globl	__hip_cuid_e0ee2df807799b06
__hip_cuid_e0ee2df807799b06:
	.byte	0                               ; 0x0
	.size	__hip_cuid_e0ee2df807799b06, 1

	.ident	"AMD clang version 19.0.0git (https://github.com/RadeonOpenCompute/llvm-project roc-6.4.0 25133 c7fe45cf4b819c5991fe208aaa96edf142730f1d)"
	.section	".note.GNU-stack","",@progbits
	.addrsig
	.addrsig_sym __hip_cuid_e0ee2df807799b06
	.amdgpu_metadata
---
amdhsa.kernels:
  - .args:
      - .actual_access:  read_only
        .address_space:  global
        .offset:         0
        .size:           8
        .value_kind:     global_buffer
      - .actual_access:  read_only
        .address_space:  global
        .offset:         8
        .size:           8
        .value_kind:     global_buffer
      - .actual_access:  read_only
        .address_space:  global
        .offset:         16
        .size:           8
        .value_kind:     global_buffer
      - .actual_access:  read_only
        .address_space:  global
        .offset:         24
        .size:           8
        .value_kind:     global_buffer
      - .actual_access:  read_only
        .address_space:  global
        .offset:         32
        .size:           8
        .value_kind:     global_buffer
      - .offset:         40
        .size:           8
        .value_kind:     by_value
      - .address_space:  global
        .offset:         48
        .size:           8
        .value_kind:     global_buffer
      - .address_space:  global
        .offset:         56
        .size:           8
        .value_kind:     global_buffer
      - .address_space:  global
        .offset:         64
        .size:           8
        .value_kind:     global_buffer
      - .address_space:  global
        .offset:         72
        .size:           8
        .value_kind:     global_buffer
      - .offset:         80
        .size:           4
        .value_kind:     by_value
      - .address_space:  global
        .offset:         88
        .size:           8
        .value_kind:     global_buffer
      - .address_space:  global
        .offset:         96
        .size:           8
        .value_kind:     global_buffer
    .group_segment_fixed_size: 22464
    .kernarg_segment_align: 8
    .kernarg_segment_size: 104
    .language:       OpenCL C
    .language_version:
      - 2
      - 0
    .max_flat_workgroup_size: 117
    .name:           bluestein_single_fwd_len156_dim1_dp_op_CI_CI
    .private_segment_fixed_size: 400
    .sgpr_count:     56
    .sgpr_spill_count: 0
    .symbol:         bluestein_single_fwd_len156_dim1_dp_op_CI_CI.kd
    .uniform_work_group_size: 1
    .uses_dynamic_stack: false
    .vgpr_count:     256
    .vgpr_spill_count: 99
    .wavefront_size: 64
amdhsa.target:   amdgcn-amd-amdhsa--gfx906
amdhsa.version:
  - 1
  - 2
...

	.end_amdgpu_metadata
